;; amdgpu-corpus repo=ggml-org/llama.cpp kind=compiled arch=gfx1250 opt=O3
	.amdgcn_target "amdgcn-amd-amdhsa--gfx1250"
	.amdhsa_code_object_version 6
	.section	.text._ZL10k_set_rowsIflfEvPKT_PKT0_PT1_llllllllllllll15HIP_vector_typeIjLj3EES9_S9_S9_S9_,"axG",@progbits,_ZL10k_set_rowsIflfEvPKT_PKT0_PT1_llllllllllllll15HIP_vector_typeIjLj3EES9_S9_S9_S9_,comdat
	.globl	_ZL10k_set_rowsIflfEvPKT_PKT0_PT1_llllllllllllll15HIP_vector_typeIjLj3EES9_S9_S9_S9_ ; -- Begin function _ZL10k_set_rowsIflfEvPKT_PKT0_PT1_llllllllllllll15HIP_vector_typeIjLj3EES9_S9_S9_S9_
	.p2align	8
	.type	_ZL10k_set_rowsIflfEvPKT_PKT0_PT1_llllllllllllll15HIP_vector_typeIjLj3EES9_S9_S9_S9_,@function
_ZL10k_set_rowsIflfEvPKT_PKT0_PT1_llllllllllllll15HIP_vector_typeIjLj3EES9_S9_S9_S9_: ; @_ZL10k_set_rowsIflfEvPKT_PKT0_PT1_llllllllllllll15HIP_vector_typeIjLj3EES9_S9_S9_S9_
; %bb.0:
	s_load_b32 s2, s[0:1], 0xd4
	s_bfe_u32 s4, ttmp6, 0x4000c
	s_load_b256 s[20:27], s[0:1], 0x0
	s_add_co_i32 s4, s4, 1
	s_and_b32 s3, ttmp6, 15
	s_mul_i32 s4, ttmp9, s4
	s_getreg_b32 s5, hwreg(HW_REG_IB_STS2, 6, 4)
	v_mov_b32_e32 v1, 0
	s_add_co_i32 s3, s3, s4
	s_wait_kmcnt 0x0
	s_and_b32 s2, s2, 0xffff
	s_cmp_eq_u32 s5, 0
	s_cselect_b32 s3, ttmp9, s3
	s_delay_alu instid0(SALU_CYCLE_1) | instskip(SKIP_2) | instid1(VALU_DEP_1)
	v_mad_nc_u64_u32 v[2:3], s2, s3, v[0:1]
	s_mov_b32 s3, 0
	s_mov_b32 s2, exec_lo
	v_cmpx_gt_i64_e64 s[26:27], v[2:3]
	s_cbranch_execz .LBB0_2
; %bb.1:
	s_load_b256 s[36:43], s[0:1], 0x88
	v_mov_b32_e32 v3, v1
	s_clause 0x2
	s_load_b128 s[28:31], s[0:1], 0xa8
	s_load_b96 s[44:46], s[0:1], 0xb8
	s_load_b512 s[4:19], s[0:1], 0x40
	s_wait_kmcnt 0x0
	s_mov_b32 s2, s36
	s_load_b64 s[0:1], s[0:1], 0x80
	v_mul_u64_e32 v[4:5], s[2:3], v[2:3]
	s_delay_alu instid0(VALU_DEP_1) | instskip(NEXT) | instid1(VALU_DEP_1)
	v_add_nc_u32_e32 v0, v5, v2
	v_lshrrev_b32_e32 v0, s37, v0
	s_delay_alu instid0(VALU_DEP_1) | instskip(NEXT) | instid1(VALU_DEP_1)
	v_mul_hi_u32 v3, v0, s39
	v_add_nc_u32_e32 v3, v0, v3
	s_delay_alu instid0(VALU_DEP_1) | instskip(NEXT) | instid1(VALU_DEP_1)
	v_lshrrev_b32_e32 v3, s40, v3
	v_mul_hi_u32 v4, v3, s42
	s_delay_alu instid0(VALU_DEP_1) | instskip(NEXT) | instid1(VALU_DEP_1)
	v_add_nc_u32_e32 v4, v3, v4
	v_lshrrev_b32_e32 v4, s43, v4
	s_delay_alu instid0(VALU_DEP_1) | instskip(SKIP_1) | instid1(VALU_DEP_2)
	v_mul_lo_u32 v5, v4, s28
	v_mul_hi_u32 v7, v4, s44
	v_sub_nc_u32_e32 v6, v3, v5
	v_mul_lo_u32 v3, v3, s41
	s_delay_alu instid0(VALU_DEP_3) | instskip(NEXT) | instid1(VALU_DEP_3)
	v_dual_mov_b32 v9, v1 :: v_dual_add_nc_u32 v7, v4, v7
	v_mul_hi_u32 v5, v6, s29
	s_delay_alu instid0(VALU_DEP_2) | instskip(NEXT) | instid1(VALU_DEP_4)
	v_lshrrev_b32_e32 v7, s45, v7
	v_sub_nc_u32_e32 v8, v0, v3
	v_mul_lo_u32 v0, v0, s38
	s_delay_alu instid0(VALU_DEP_3) | instskip(SKIP_1) | instid1(VALU_DEP_4)
	v_mul_lo_u32 v7, v7, s46
	v_dual_mov_b32 v15, v1 :: v_dual_add_nc_u32 v5, v6, v5
	v_mul_u64_e32 v[12:13], s[10:11], v[8:9]
	v_mul_u64_e32 v[8:9], s[4:5], v[8:9]
	s_delay_alu instid0(VALU_DEP_3) | instskip(SKIP_1) | instid1(VALU_DEP_2)
	v_dual_lshrrev_b32 v5, s30, v5 :: v_dual_sub_nc_u32 v0, v2, v0
	v_sub_nc_u32_e32 v14, v4, v7
	v_mul_lo_u32 v5, v5, s31
	v_dual_mov_b32 v11, v1 :: v_dual_mov_b32 v7, v1
	s_delay_alu instid0(VALU_DEP_3) | instskip(NEXT) | instid1(VALU_DEP_3)
	v_mul_u64_e32 v[14:15], s[14:15], v[14:15]
	v_dual_mov_b32 v5, v1 :: v_dual_sub_nc_u32 v10, v6, v5
	v_lshlrev_b64_e32 v[0:1], 2, v[0:1]
	s_delay_alu instid0(VALU_DEP_2) | instskip(SKIP_2) | instid1(VALU_DEP_2)
	v_mul_u64_e32 v[10:11], s[12:13], v[10:11]
	v_lshl_add_u64 v[12:13], v[12:13], 3, s[22:23]
	v_lshl_add_u64 v[8:9], v[8:9], 2, s[20:21]
	;; [unrolled: 1-line block ×3, first 2 shown]
	v_mul_u64_e32 v[12:13], s[6:7], v[6:7]
	v_mul_u64_e32 v[6:7], s[18:19], v[6:7]
	s_delay_alu instid0(VALU_DEP_3)
	v_lshl_add_u64 v[10:11], v[14:15], 3, v[10:11]
	v_mul_u64_e32 v[14:15], s[8:9], v[4:5]
	s_wait_kmcnt 0x0
	v_mul_u64_e32 v[4:5], s[0:1], v[4:5]
	global_load_b64 v[10:11], v[10:11], off
	v_lshl_add_u64 v[2:3], v[12:13], 2, v[8:9]
	s_delay_alu instid0(VALU_DEP_1) | instskip(NEXT) | instid1(VALU_DEP_1)
	v_lshl_add_u64 v[2:3], v[14:15], 2, v[2:3]
	v_add_nc_u64_e32 v[2:3], v[2:3], v[0:1]
	global_load_b32 v8, v[2:3], off
	s_wait_loadcnt 0x1
	s_wait_xcnt 0x0
	v_mul_u64_e32 v[2:3], s[16:17], v[10:11]
	s_delay_alu instid0(VALU_DEP_1) | instskip(NEXT) | instid1(VALU_DEP_1)
	v_lshl_add_u64 v[2:3], v[2:3], 2, s[24:25]
	v_lshl_add_u64 v[2:3], v[6:7], 2, v[2:3]
	s_delay_alu instid0(VALU_DEP_1) | instskip(NEXT) | instid1(VALU_DEP_1)
	v_lshl_add_u64 v[2:3], v[4:5], 2, v[2:3]
	v_add_nc_u64_e32 v[0:1], v[2:3], v[0:1]
	s_wait_loadcnt 0x0
	global_store_b32 v[0:1], v8, off
.LBB0_2:
	s_endpgm
	.section	.rodata,"a",@progbits
	.p2align	6, 0x0
	.amdhsa_kernel _ZL10k_set_rowsIflfEvPKT_PKT0_PT1_llllllllllllll15HIP_vector_typeIjLj3EES9_S9_S9_S9_
		.amdhsa_group_segment_fixed_size 0
		.amdhsa_private_segment_fixed_size 0
		.amdhsa_kernarg_size 456
		.amdhsa_user_sgpr_count 2
		.amdhsa_user_sgpr_dispatch_ptr 0
		.amdhsa_user_sgpr_queue_ptr 0
		.amdhsa_user_sgpr_kernarg_segment_ptr 1
		.amdhsa_user_sgpr_dispatch_id 0
		.amdhsa_user_sgpr_kernarg_preload_length 0
		.amdhsa_user_sgpr_kernarg_preload_offset 0
		.amdhsa_user_sgpr_private_segment_size 0
		.amdhsa_wavefront_size32 1
		.amdhsa_uses_dynamic_stack 0
		.amdhsa_enable_private_segment 0
		.amdhsa_system_sgpr_workgroup_id_x 1
		.amdhsa_system_sgpr_workgroup_id_y 0
		.amdhsa_system_sgpr_workgroup_id_z 0
		.amdhsa_system_sgpr_workgroup_info 0
		.amdhsa_system_vgpr_workitem_id 0
		.amdhsa_next_free_vgpr 16
		.amdhsa_next_free_sgpr 47
		.amdhsa_named_barrier_count 0
		.amdhsa_reserve_vcc 0
		.amdhsa_float_round_mode_32 0
		.amdhsa_float_round_mode_16_64 0
		.amdhsa_float_denorm_mode_32 3
		.amdhsa_float_denorm_mode_16_64 3
		.amdhsa_fp16_overflow 0
		.amdhsa_memory_ordered 1
		.amdhsa_forward_progress 1
		.amdhsa_inst_pref_size 5
		.amdhsa_round_robin_scheduling 0
		.amdhsa_exception_fp_ieee_invalid_op 0
		.amdhsa_exception_fp_denorm_src 0
		.amdhsa_exception_fp_ieee_div_zero 0
		.amdhsa_exception_fp_ieee_overflow 0
		.amdhsa_exception_fp_ieee_underflow 0
		.amdhsa_exception_fp_ieee_inexact 0
		.amdhsa_exception_int_div_zero 0
	.end_amdhsa_kernel
	.section	.text._ZL10k_set_rowsIflfEvPKT_PKT0_PT1_llllllllllllll15HIP_vector_typeIjLj3EES9_S9_S9_S9_,"axG",@progbits,_ZL10k_set_rowsIflfEvPKT_PKT0_PT1_llllllllllllll15HIP_vector_typeIjLj3EES9_S9_S9_S9_,comdat
.Lfunc_end0:
	.size	_ZL10k_set_rowsIflfEvPKT_PKT0_PT1_llllllllllllll15HIP_vector_typeIjLj3EES9_S9_S9_S9_, .Lfunc_end0-_ZL10k_set_rowsIflfEvPKT_PKT0_PT1_llllllllllllll15HIP_vector_typeIjLj3EES9_S9_S9_S9_
                                        ; -- End function
	.set _ZL10k_set_rowsIflfEvPKT_PKT0_PT1_llllllllllllll15HIP_vector_typeIjLj3EES9_S9_S9_S9_.num_vgpr, 16
	.set _ZL10k_set_rowsIflfEvPKT_PKT0_PT1_llllllllllllll15HIP_vector_typeIjLj3EES9_S9_S9_S9_.num_agpr, 0
	.set _ZL10k_set_rowsIflfEvPKT_PKT0_PT1_llllllllllllll15HIP_vector_typeIjLj3EES9_S9_S9_S9_.numbered_sgpr, 47
	.set _ZL10k_set_rowsIflfEvPKT_PKT0_PT1_llllllllllllll15HIP_vector_typeIjLj3EES9_S9_S9_S9_.num_named_barrier, 0
	.set _ZL10k_set_rowsIflfEvPKT_PKT0_PT1_llllllllllllll15HIP_vector_typeIjLj3EES9_S9_S9_S9_.private_seg_size, 0
	.set _ZL10k_set_rowsIflfEvPKT_PKT0_PT1_llllllllllllll15HIP_vector_typeIjLj3EES9_S9_S9_S9_.uses_vcc, 0
	.set _ZL10k_set_rowsIflfEvPKT_PKT0_PT1_llllllllllllll15HIP_vector_typeIjLj3EES9_S9_S9_S9_.uses_flat_scratch, 0
	.set _ZL10k_set_rowsIflfEvPKT_PKT0_PT1_llllllllllllll15HIP_vector_typeIjLj3EES9_S9_S9_S9_.has_dyn_sized_stack, 0
	.set _ZL10k_set_rowsIflfEvPKT_PKT0_PT1_llllllllllllll15HIP_vector_typeIjLj3EES9_S9_S9_S9_.has_recursion, 0
	.set _ZL10k_set_rowsIflfEvPKT_PKT0_PT1_llllllllllllll15HIP_vector_typeIjLj3EES9_S9_S9_S9_.has_indirect_call, 0
	.section	.AMDGPU.csdata,"",@progbits
; Kernel info:
; codeLenInByte = 564
; TotalNumSgprs: 47
; NumVgprs: 16
; ScratchSize: 0
; MemoryBound: 0
; FloatMode: 240
; IeeeMode: 1
; LDSByteSize: 0 bytes/workgroup (compile time only)
; SGPRBlocks: 0
; VGPRBlocks: 0
; NumSGPRsForWavesPerEU: 47
; NumVGPRsForWavesPerEU: 16
; NamedBarCnt: 0
; Occupancy: 16
; WaveLimiterHint : 1
; COMPUTE_PGM_RSRC2:SCRATCH_EN: 0
; COMPUTE_PGM_RSRC2:USER_SGPR: 2
; COMPUTE_PGM_RSRC2:TRAP_HANDLER: 0
; COMPUTE_PGM_RSRC2:TGID_X_EN: 1
; COMPUTE_PGM_RSRC2:TGID_Y_EN: 0
; COMPUTE_PGM_RSRC2:TGID_Z_EN: 0
; COMPUTE_PGM_RSRC2:TIDIG_COMP_CNT: 0
	.section	.text._ZL10k_set_rowsIfl6__halfEvPKT_PKT0_PT1_llllllllllllll15HIP_vector_typeIjLj3EESA_SA_SA_SA_,"axG",@progbits,_ZL10k_set_rowsIfl6__halfEvPKT_PKT0_PT1_llllllllllllll15HIP_vector_typeIjLj3EESA_SA_SA_SA_,comdat
	.globl	_ZL10k_set_rowsIfl6__halfEvPKT_PKT0_PT1_llllllllllllll15HIP_vector_typeIjLj3EESA_SA_SA_SA_ ; -- Begin function _ZL10k_set_rowsIfl6__halfEvPKT_PKT0_PT1_llllllllllllll15HIP_vector_typeIjLj3EESA_SA_SA_SA_
	.p2align	8
	.type	_ZL10k_set_rowsIfl6__halfEvPKT_PKT0_PT1_llllllllllllll15HIP_vector_typeIjLj3EESA_SA_SA_SA_,@function
_ZL10k_set_rowsIfl6__halfEvPKT_PKT0_PT1_llllllllllllll15HIP_vector_typeIjLj3EESA_SA_SA_SA_: ; @_ZL10k_set_rowsIfl6__halfEvPKT_PKT0_PT1_llllllllllllll15HIP_vector_typeIjLj3EESA_SA_SA_SA_
; %bb.0:
	s_load_b32 s2, s[0:1], 0xd4
	s_bfe_u32 s4, ttmp6, 0x4000c
	s_load_b256 s[20:27], s[0:1], 0x0
	s_add_co_i32 s4, s4, 1
	s_and_b32 s3, ttmp6, 15
	s_mul_i32 s4, ttmp9, s4
	s_getreg_b32 s5, hwreg(HW_REG_IB_STS2, 6, 4)
	v_mov_b32_e32 v1, 0
	s_add_co_i32 s3, s3, s4
	s_wait_kmcnt 0x0
	s_and_b32 s2, s2, 0xffff
	s_cmp_eq_u32 s5, 0
	s_cselect_b32 s3, ttmp9, s3
	s_delay_alu instid0(SALU_CYCLE_1) | instskip(SKIP_2) | instid1(VALU_DEP_1)
	v_mad_nc_u64_u32 v[2:3], s2, s3, v[0:1]
	s_mov_b32 s3, 0
	s_mov_b32 s2, exec_lo
	v_cmpx_gt_i64_e64 s[26:27], v[2:3]
	s_cbranch_execz .LBB1_2
; %bb.1:
	s_load_b256 s[36:43], s[0:1], 0x88
	v_mov_b32_e32 v3, v1
	s_clause 0x2
	s_load_b128 s[28:31], s[0:1], 0xa8
	s_load_b96 s[44:46], s[0:1], 0xb8
	s_load_b512 s[4:19], s[0:1], 0x40
	v_mov_b32_e32 v15, v1
	s_wait_xcnt 0x0
	s_load_b64 s[0:1], s[0:1], 0x80
	s_wait_kmcnt 0x0
	s_mov_b32 s2, s36
	s_delay_alu instid0(SALU_CYCLE_1) | instskip(NEXT) | instid1(VALU_DEP_1)
	v_mul_u64_e32 v[4:5], s[2:3], v[2:3]
	v_add_nc_u32_e32 v0, v5, v2
	s_delay_alu instid0(VALU_DEP_1) | instskip(NEXT) | instid1(VALU_DEP_1)
	v_lshrrev_b32_e32 v0, s37, v0
	v_mul_hi_u32 v3, v0, s39
	s_delay_alu instid0(VALU_DEP_1) | instskip(NEXT) | instid1(VALU_DEP_1)
	v_add_nc_u32_e32 v3, v0, v3
	v_lshrrev_b32_e32 v3, s40, v3
	s_delay_alu instid0(VALU_DEP_1) | instskip(NEXT) | instid1(VALU_DEP_1)
	v_mul_hi_u32 v4, v3, s42
	v_add_nc_u32_e32 v4, v3, v4
	s_delay_alu instid0(VALU_DEP_1) | instskip(NEXT) | instid1(VALU_DEP_1)
	v_lshrrev_b32_e32 v4, s43, v4
	v_mul_lo_u32 v5, v4, s28
	v_mul_hi_u32 v7, v4, s44
	s_delay_alu instid0(VALU_DEP_1) | instskip(SKIP_2) | instid1(VALU_DEP_3)
	v_dual_sub_nc_u32 v6, v3, v5 :: v_dual_add_nc_u32 v7, v4, v7
	v_mul_lo_u32 v3, v3, s41
	v_mov_b32_e32 v9, v1
	v_mul_hi_u32 v5, v6, s29
	s_delay_alu instid0(VALU_DEP_4) | instskip(NEXT) | instid1(VALU_DEP_1)
	v_lshrrev_b32_e32 v7, s45, v7
	v_mul_lo_u32 v7, v7, s46
	v_sub_nc_u32_e32 v8, v0, v3
	v_mul_lo_u32 v0, v0, s38
	v_add_nc_u32_e32 v5, v6, v5
	s_delay_alu instid0(VALU_DEP_3) | instskip(SKIP_1) | instid1(VALU_DEP_3)
	v_mul_u64_e32 v[12:13], s[10:11], v[8:9]
	v_mul_u64_e32 v[8:9], s[4:5], v[8:9]
	v_dual_lshrrev_b32 v5, s30, v5 :: v_dual_sub_nc_u32 v14, v4, v7
	v_dual_mov_b32 v7, v1 :: v_dual_sub_nc_u32 v0, v2, v0
	s_delay_alu instid0(VALU_DEP_2) | instskip(SKIP_1) | instid1(VALU_DEP_4)
	v_mul_lo_u32 v5, v5, s31
	v_mov_b32_e32 v11, v1
	v_mul_u64_e32 v[14:15], s[14:15], v[14:15]
	s_delay_alu instid0(VALU_DEP_3) | instskip(NEXT) | instid1(VALU_DEP_1)
	v_dual_mov_b32 v5, v1 :: v_dual_sub_nc_u32 v10, v6, v5
	v_mul_u64_e32 v[10:11], s[12:13], v[10:11]
	v_lshl_add_u64 v[12:13], v[12:13], 3, s[22:23]
	v_lshl_add_u64 v[8:9], v[8:9], 2, s[20:21]
	s_delay_alu instid0(VALU_DEP_2) | instskip(SKIP_2) | instid1(VALU_DEP_3)
	v_lshl_add_u64 v[10:11], v[10:11], 3, v[12:13]
	v_mul_u64_e32 v[12:13], s[6:7], v[6:7]
	v_mul_u64_e32 v[6:7], s[18:19], v[6:7]
	v_lshl_add_u64 v[10:11], v[14:15], 3, v[10:11]
	v_mul_u64_e32 v[14:15], s[8:9], v[4:5]
	v_mul_u64_e32 v[4:5], s[0:1], v[4:5]
	global_load_b64 v[10:11], v[10:11], off
	v_lshl_add_u64 v[8:9], v[12:13], 2, v[8:9]
	s_delay_alu instid0(VALU_DEP_1) | instskip(NEXT) | instid1(VALU_DEP_1)
	v_lshl_add_u64 v[2:3], v[14:15], 2, v[8:9]
	v_lshl_add_u64 v[2:3], v[0:1], 2, v[2:3]
	global_load_b32 v8, v[2:3], off
	s_wait_loadcnt 0x1
	s_wait_xcnt 0x0
	v_mul_u64_e32 v[2:3], s[16:17], v[10:11]
	s_delay_alu instid0(VALU_DEP_1) | instskip(NEXT) | instid1(VALU_DEP_1)
	v_lshl_add_u64 v[2:3], v[2:3], 1, s[24:25]
	v_lshl_add_u64 v[2:3], v[6:7], 1, v[2:3]
	s_delay_alu instid0(VALU_DEP_1) | instskip(SKIP_2) | instid1(VALU_DEP_2)
	v_lshl_add_u64 v[2:3], v[4:5], 1, v[2:3]
	s_wait_loadcnt 0x0
	v_cvt_f16_f32_e32 v4, v8
	v_lshl_add_u64 v[0:1], v[0:1], 1, v[2:3]
	global_store_b16 v[0:1], v4, off
.LBB1_2:
	s_endpgm
	.section	.rodata,"a",@progbits
	.p2align	6, 0x0
	.amdhsa_kernel _ZL10k_set_rowsIfl6__halfEvPKT_PKT0_PT1_llllllllllllll15HIP_vector_typeIjLj3EESA_SA_SA_SA_
		.amdhsa_group_segment_fixed_size 0
		.amdhsa_private_segment_fixed_size 0
		.amdhsa_kernarg_size 456
		.amdhsa_user_sgpr_count 2
		.amdhsa_user_sgpr_dispatch_ptr 0
		.amdhsa_user_sgpr_queue_ptr 0
		.amdhsa_user_sgpr_kernarg_segment_ptr 1
		.amdhsa_user_sgpr_dispatch_id 0
		.amdhsa_user_sgpr_kernarg_preload_length 0
		.amdhsa_user_sgpr_kernarg_preload_offset 0
		.amdhsa_user_sgpr_private_segment_size 0
		.amdhsa_wavefront_size32 1
		.amdhsa_uses_dynamic_stack 0
		.amdhsa_enable_private_segment 0
		.amdhsa_system_sgpr_workgroup_id_x 1
		.amdhsa_system_sgpr_workgroup_id_y 0
		.amdhsa_system_sgpr_workgroup_id_z 0
		.amdhsa_system_sgpr_workgroup_info 0
		.amdhsa_system_vgpr_workitem_id 0
		.amdhsa_next_free_vgpr 16
		.amdhsa_next_free_sgpr 47
		.amdhsa_named_barrier_count 0
		.amdhsa_reserve_vcc 0
		.amdhsa_float_round_mode_32 0
		.amdhsa_float_round_mode_16_64 0
		.amdhsa_float_denorm_mode_32 3
		.amdhsa_float_denorm_mode_16_64 3
		.amdhsa_fp16_overflow 0
		.amdhsa_memory_ordered 1
		.amdhsa_forward_progress 1
		.amdhsa_inst_pref_size 5
		.amdhsa_round_robin_scheduling 0
		.amdhsa_exception_fp_ieee_invalid_op 0
		.amdhsa_exception_fp_denorm_src 0
		.amdhsa_exception_fp_ieee_div_zero 0
		.amdhsa_exception_fp_ieee_overflow 0
		.amdhsa_exception_fp_ieee_underflow 0
		.amdhsa_exception_fp_ieee_inexact 0
		.amdhsa_exception_int_div_zero 0
	.end_amdhsa_kernel
	.section	.text._ZL10k_set_rowsIfl6__halfEvPKT_PKT0_PT1_llllllllllllll15HIP_vector_typeIjLj3EESA_SA_SA_SA_,"axG",@progbits,_ZL10k_set_rowsIfl6__halfEvPKT_PKT0_PT1_llllllllllllll15HIP_vector_typeIjLj3EESA_SA_SA_SA_,comdat
.Lfunc_end1:
	.size	_ZL10k_set_rowsIfl6__halfEvPKT_PKT0_PT1_llllllllllllll15HIP_vector_typeIjLj3EESA_SA_SA_SA_, .Lfunc_end1-_ZL10k_set_rowsIfl6__halfEvPKT_PKT0_PT1_llllllllllllll15HIP_vector_typeIjLj3EESA_SA_SA_SA_
                                        ; -- End function
	.set _ZL10k_set_rowsIfl6__halfEvPKT_PKT0_PT1_llllllllllllll15HIP_vector_typeIjLj3EESA_SA_SA_SA_.num_vgpr, 16
	.set _ZL10k_set_rowsIfl6__halfEvPKT_PKT0_PT1_llllllllllllll15HIP_vector_typeIjLj3EESA_SA_SA_SA_.num_agpr, 0
	.set _ZL10k_set_rowsIfl6__halfEvPKT_PKT0_PT1_llllllllllllll15HIP_vector_typeIjLj3EESA_SA_SA_SA_.numbered_sgpr, 47
	.set _ZL10k_set_rowsIfl6__halfEvPKT_PKT0_PT1_llllllllllllll15HIP_vector_typeIjLj3EESA_SA_SA_SA_.num_named_barrier, 0
	.set _ZL10k_set_rowsIfl6__halfEvPKT_PKT0_PT1_llllllllllllll15HIP_vector_typeIjLj3EESA_SA_SA_SA_.private_seg_size, 0
	.set _ZL10k_set_rowsIfl6__halfEvPKT_PKT0_PT1_llllllllllllll15HIP_vector_typeIjLj3EESA_SA_SA_SA_.uses_vcc, 0
	.set _ZL10k_set_rowsIfl6__halfEvPKT_PKT0_PT1_llllllllllllll15HIP_vector_typeIjLj3EESA_SA_SA_SA_.uses_flat_scratch, 0
	.set _ZL10k_set_rowsIfl6__halfEvPKT_PKT0_PT1_llllllllllllll15HIP_vector_typeIjLj3EESA_SA_SA_SA_.has_dyn_sized_stack, 0
	.set _ZL10k_set_rowsIfl6__halfEvPKT_PKT0_PT1_llllllllllllll15HIP_vector_typeIjLj3EESA_SA_SA_SA_.has_recursion, 0
	.set _ZL10k_set_rowsIfl6__halfEvPKT_PKT0_PT1_llllllllllllll15HIP_vector_typeIjLj3EESA_SA_SA_SA_.has_indirect_call, 0
	.section	.AMDGPU.csdata,"",@progbits
; Kernel info:
; codeLenInByte = 560
; TotalNumSgprs: 47
; NumVgprs: 16
; ScratchSize: 0
; MemoryBound: 0
; FloatMode: 240
; IeeeMode: 1
; LDSByteSize: 0 bytes/workgroup (compile time only)
; SGPRBlocks: 0
; VGPRBlocks: 0
; NumSGPRsForWavesPerEU: 47
; NumVGPRsForWavesPerEU: 16
; NamedBarCnt: 0
; Occupancy: 16
; WaveLimiterHint : 1
; COMPUTE_PGM_RSRC2:SCRATCH_EN: 0
; COMPUTE_PGM_RSRC2:USER_SGPR: 2
; COMPUTE_PGM_RSRC2:TRAP_HANDLER: 0
; COMPUTE_PGM_RSRC2:TGID_X_EN: 1
; COMPUTE_PGM_RSRC2:TGID_Y_EN: 0
; COMPUTE_PGM_RSRC2:TGID_Z_EN: 0
; COMPUTE_PGM_RSRC2:TIDIG_COMP_CNT: 0
	.section	.text._ZL10k_set_rowsIfl14__hip_bfloat16EvPKT_PKT0_PT1_llllllllllllll15HIP_vector_typeIjLj3EESA_SA_SA_SA_,"axG",@progbits,_ZL10k_set_rowsIfl14__hip_bfloat16EvPKT_PKT0_PT1_llllllllllllll15HIP_vector_typeIjLj3EESA_SA_SA_SA_,comdat
	.globl	_ZL10k_set_rowsIfl14__hip_bfloat16EvPKT_PKT0_PT1_llllllllllllll15HIP_vector_typeIjLj3EESA_SA_SA_SA_ ; -- Begin function _ZL10k_set_rowsIfl14__hip_bfloat16EvPKT_PKT0_PT1_llllllllllllll15HIP_vector_typeIjLj3EESA_SA_SA_SA_
	.p2align	8
	.type	_ZL10k_set_rowsIfl14__hip_bfloat16EvPKT_PKT0_PT1_llllllllllllll15HIP_vector_typeIjLj3EESA_SA_SA_SA_,@function
_ZL10k_set_rowsIfl14__hip_bfloat16EvPKT_PKT0_PT1_llllllllllllll15HIP_vector_typeIjLj3EESA_SA_SA_SA_: ; @_ZL10k_set_rowsIfl14__hip_bfloat16EvPKT_PKT0_PT1_llllllllllllll15HIP_vector_typeIjLj3EESA_SA_SA_SA_
; %bb.0:
	s_load_b32 s2, s[0:1], 0xd4
	s_bfe_u32 s4, ttmp6, 0x4000c
	s_load_b256 s[20:27], s[0:1], 0x0
	s_add_co_i32 s4, s4, 1
	s_and_b32 s3, ttmp6, 15
	s_mul_i32 s4, ttmp9, s4
	s_getreg_b32 s5, hwreg(HW_REG_IB_STS2, 6, 4)
	v_mov_b32_e32 v1, 0
	s_add_co_i32 s3, s3, s4
	s_wait_kmcnt 0x0
	s_and_b32 s2, s2, 0xffff
	s_cmp_eq_u32 s5, 0
	s_cselect_b32 s3, ttmp9, s3
	s_delay_alu instid0(SALU_CYCLE_1) | instskip(SKIP_2) | instid1(VALU_DEP_1)
	v_mad_nc_u64_u32 v[2:3], s2, s3, v[0:1]
	s_mov_b32 s3, 0
	s_mov_b32 s2, exec_lo
	v_cmpx_gt_i64_e64 s[26:27], v[2:3]
	s_cbranch_execz .LBB2_2
; %bb.1:
	s_load_b256 s[36:43], s[0:1], 0x88
	v_mov_b32_e32 v3, v1
	s_clause 0x2
	s_load_b128 s[28:31], s[0:1], 0xa8
	s_load_b96 s[44:46], s[0:1], 0xb8
	s_load_b512 s[4:19], s[0:1], 0x40
	v_mov_b32_e32 v15, v1
	s_wait_xcnt 0x0
	s_load_b64 s[0:1], s[0:1], 0x80
	s_wait_kmcnt 0x0
	s_mov_b32 s2, s36
	s_delay_alu instid0(SALU_CYCLE_1) | instskip(NEXT) | instid1(VALU_DEP_1)
	v_mul_u64_e32 v[4:5], s[2:3], v[2:3]
	v_add_nc_u32_e32 v0, v5, v2
	s_delay_alu instid0(VALU_DEP_1) | instskip(NEXT) | instid1(VALU_DEP_1)
	v_lshrrev_b32_e32 v0, s37, v0
	v_mul_hi_u32 v3, v0, s39
	s_delay_alu instid0(VALU_DEP_1) | instskip(NEXT) | instid1(VALU_DEP_1)
	v_add_nc_u32_e32 v3, v0, v3
	v_lshrrev_b32_e32 v3, s40, v3
	s_delay_alu instid0(VALU_DEP_1) | instskip(NEXT) | instid1(VALU_DEP_1)
	v_mul_hi_u32 v4, v3, s42
	v_add_nc_u32_e32 v4, v3, v4
	s_delay_alu instid0(VALU_DEP_1) | instskip(NEXT) | instid1(VALU_DEP_1)
	v_lshrrev_b32_e32 v4, s43, v4
	v_mul_lo_u32 v5, v4, s28
	v_mul_hi_u32 v7, v4, s44
	s_delay_alu instid0(VALU_DEP_1) | instskip(SKIP_2) | instid1(VALU_DEP_3)
	v_dual_sub_nc_u32 v6, v3, v5 :: v_dual_add_nc_u32 v7, v4, v7
	v_mul_lo_u32 v3, v3, s41
	v_mov_b32_e32 v9, v1
	v_mul_hi_u32 v5, v6, s29
	s_delay_alu instid0(VALU_DEP_4) | instskip(NEXT) | instid1(VALU_DEP_1)
	v_lshrrev_b32_e32 v7, s45, v7
	v_mul_lo_u32 v7, v7, s46
	v_sub_nc_u32_e32 v8, v0, v3
	v_mul_lo_u32 v0, v0, s38
	v_add_nc_u32_e32 v5, v6, v5
	s_delay_alu instid0(VALU_DEP_3) | instskip(SKIP_1) | instid1(VALU_DEP_3)
	v_mul_u64_e32 v[12:13], s[10:11], v[8:9]
	v_mul_u64_e32 v[8:9], s[4:5], v[8:9]
	v_dual_lshrrev_b32 v5, s30, v5 :: v_dual_sub_nc_u32 v14, v4, v7
	v_dual_mov_b32 v7, v1 :: v_dual_sub_nc_u32 v0, v2, v0
	s_delay_alu instid0(VALU_DEP_2) | instskip(SKIP_1) | instid1(VALU_DEP_4)
	v_mul_lo_u32 v5, v5, s31
	v_mov_b32_e32 v11, v1
	v_mul_u64_e32 v[14:15], s[14:15], v[14:15]
	s_delay_alu instid0(VALU_DEP_3) | instskip(NEXT) | instid1(VALU_DEP_1)
	v_dual_mov_b32 v5, v1 :: v_dual_sub_nc_u32 v10, v6, v5
	v_mul_u64_e32 v[10:11], s[12:13], v[10:11]
	v_lshl_add_u64 v[12:13], v[12:13], 3, s[22:23]
	v_lshl_add_u64 v[8:9], v[8:9], 2, s[20:21]
	s_delay_alu instid0(VALU_DEP_2) | instskip(SKIP_2) | instid1(VALU_DEP_3)
	v_lshl_add_u64 v[10:11], v[10:11], 3, v[12:13]
	v_mul_u64_e32 v[12:13], s[6:7], v[6:7]
	v_mul_u64_e32 v[6:7], s[18:19], v[6:7]
	v_lshl_add_u64 v[10:11], v[14:15], 3, v[10:11]
	v_mul_u64_e32 v[14:15], s[8:9], v[4:5]
	v_mul_u64_e32 v[4:5], s[0:1], v[4:5]
	global_load_b64 v[10:11], v[10:11], off
	v_lshl_add_u64 v[8:9], v[12:13], 2, v[8:9]
	s_delay_alu instid0(VALU_DEP_1) | instskip(NEXT) | instid1(VALU_DEP_1)
	v_lshl_add_u64 v[2:3], v[14:15], 2, v[8:9]
	v_lshl_add_u64 v[2:3], v[0:1], 2, v[2:3]
	global_load_b32 v8, v[2:3], off
	s_wait_loadcnt 0x1
	s_wait_xcnt 0x0
	v_mul_u64_e32 v[2:3], s[16:17], v[10:11]
	s_delay_alu instid0(VALU_DEP_1) | instskip(NEXT) | instid1(VALU_DEP_1)
	v_lshl_add_u64 v[2:3], v[2:3], 1, s[24:25]
	v_lshl_add_u64 v[2:3], v[6:7], 1, v[2:3]
	s_delay_alu instid0(VALU_DEP_1) | instskip(SKIP_2) | instid1(VALU_DEP_2)
	v_lshl_add_u64 v[2:3], v[4:5], 1, v[2:3]
	s_wait_loadcnt 0x0
	v_cvt_pk_bf16_f32 v4, v8, s0
	v_lshl_add_u64 v[0:1], v[0:1], 1, v[2:3]
	global_store_b16 v[0:1], v4, off
.LBB2_2:
	s_endpgm
	.section	.rodata,"a",@progbits
	.p2align	6, 0x0
	.amdhsa_kernel _ZL10k_set_rowsIfl14__hip_bfloat16EvPKT_PKT0_PT1_llllllllllllll15HIP_vector_typeIjLj3EESA_SA_SA_SA_
		.amdhsa_group_segment_fixed_size 0
		.amdhsa_private_segment_fixed_size 0
		.amdhsa_kernarg_size 456
		.amdhsa_user_sgpr_count 2
		.amdhsa_user_sgpr_dispatch_ptr 0
		.amdhsa_user_sgpr_queue_ptr 0
		.amdhsa_user_sgpr_kernarg_segment_ptr 1
		.amdhsa_user_sgpr_dispatch_id 0
		.amdhsa_user_sgpr_kernarg_preload_length 0
		.amdhsa_user_sgpr_kernarg_preload_offset 0
		.amdhsa_user_sgpr_private_segment_size 0
		.amdhsa_wavefront_size32 1
		.amdhsa_uses_dynamic_stack 0
		.amdhsa_enable_private_segment 0
		.amdhsa_system_sgpr_workgroup_id_x 1
		.amdhsa_system_sgpr_workgroup_id_y 0
		.amdhsa_system_sgpr_workgroup_id_z 0
		.amdhsa_system_sgpr_workgroup_info 0
		.amdhsa_system_vgpr_workitem_id 0
		.amdhsa_next_free_vgpr 16
		.amdhsa_next_free_sgpr 47
		.amdhsa_named_barrier_count 0
		.amdhsa_reserve_vcc 0
		.amdhsa_float_round_mode_32 0
		.amdhsa_float_round_mode_16_64 0
		.amdhsa_float_denorm_mode_32 3
		.amdhsa_float_denorm_mode_16_64 3
		.amdhsa_fp16_overflow 0
		.amdhsa_memory_ordered 1
		.amdhsa_forward_progress 1
		.amdhsa_inst_pref_size 5
		.amdhsa_round_robin_scheduling 0
		.amdhsa_exception_fp_ieee_invalid_op 0
		.amdhsa_exception_fp_denorm_src 0
		.amdhsa_exception_fp_ieee_div_zero 0
		.amdhsa_exception_fp_ieee_overflow 0
		.amdhsa_exception_fp_ieee_underflow 0
		.amdhsa_exception_fp_ieee_inexact 0
		.amdhsa_exception_int_div_zero 0
	.end_amdhsa_kernel
	.section	.text._ZL10k_set_rowsIfl14__hip_bfloat16EvPKT_PKT0_PT1_llllllllllllll15HIP_vector_typeIjLj3EESA_SA_SA_SA_,"axG",@progbits,_ZL10k_set_rowsIfl14__hip_bfloat16EvPKT_PKT0_PT1_llllllllllllll15HIP_vector_typeIjLj3EESA_SA_SA_SA_,comdat
.Lfunc_end2:
	.size	_ZL10k_set_rowsIfl14__hip_bfloat16EvPKT_PKT0_PT1_llllllllllllll15HIP_vector_typeIjLj3EESA_SA_SA_SA_, .Lfunc_end2-_ZL10k_set_rowsIfl14__hip_bfloat16EvPKT_PKT0_PT1_llllllllllllll15HIP_vector_typeIjLj3EESA_SA_SA_SA_
                                        ; -- End function
	.set _ZL10k_set_rowsIfl14__hip_bfloat16EvPKT_PKT0_PT1_llllllllllllll15HIP_vector_typeIjLj3EESA_SA_SA_SA_.num_vgpr, 16
	.set _ZL10k_set_rowsIfl14__hip_bfloat16EvPKT_PKT0_PT1_llllllllllllll15HIP_vector_typeIjLj3EESA_SA_SA_SA_.num_agpr, 0
	.set _ZL10k_set_rowsIfl14__hip_bfloat16EvPKT_PKT0_PT1_llllllllllllll15HIP_vector_typeIjLj3EESA_SA_SA_SA_.numbered_sgpr, 47
	.set _ZL10k_set_rowsIfl14__hip_bfloat16EvPKT_PKT0_PT1_llllllllllllll15HIP_vector_typeIjLj3EESA_SA_SA_SA_.num_named_barrier, 0
	.set _ZL10k_set_rowsIfl14__hip_bfloat16EvPKT_PKT0_PT1_llllllllllllll15HIP_vector_typeIjLj3EESA_SA_SA_SA_.private_seg_size, 0
	.set _ZL10k_set_rowsIfl14__hip_bfloat16EvPKT_PKT0_PT1_llllllllllllll15HIP_vector_typeIjLj3EESA_SA_SA_SA_.uses_vcc, 0
	.set _ZL10k_set_rowsIfl14__hip_bfloat16EvPKT_PKT0_PT1_llllllllllllll15HIP_vector_typeIjLj3EESA_SA_SA_SA_.uses_flat_scratch, 0
	.set _ZL10k_set_rowsIfl14__hip_bfloat16EvPKT_PKT0_PT1_llllllllllllll15HIP_vector_typeIjLj3EESA_SA_SA_SA_.has_dyn_sized_stack, 0
	.set _ZL10k_set_rowsIfl14__hip_bfloat16EvPKT_PKT0_PT1_llllllllllllll15HIP_vector_typeIjLj3EESA_SA_SA_SA_.has_recursion, 0
	.set _ZL10k_set_rowsIfl14__hip_bfloat16EvPKT_PKT0_PT1_llllllllllllll15HIP_vector_typeIjLj3EESA_SA_SA_SA_.has_indirect_call, 0
	.section	.AMDGPU.csdata,"",@progbits
; Kernel info:
; codeLenInByte = 564
; TotalNumSgprs: 47
; NumVgprs: 16
; ScratchSize: 0
; MemoryBound: 0
; FloatMode: 240
; IeeeMode: 1
; LDSByteSize: 0 bytes/workgroup (compile time only)
; SGPRBlocks: 0
; VGPRBlocks: 0
; NumSGPRsForWavesPerEU: 47
; NumVGPRsForWavesPerEU: 16
; NamedBarCnt: 0
; Occupancy: 16
; WaveLimiterHint : 1
; COMPUTE_PGM_RSRC2:SCRATCH_EN: 0
; COMPUTE_PGM_RSRC2:USER_SGPR: 2
; COMPUTE_PGM_RSRC2:TRAP_HANDLER: 0
; COMPUTE_PGM_RSRC2:TGID_X_EN: 1
; COMPUTE_PGM_RSRC2:TGID_Y_EN: 0
; COMPUTE_PGM_RSRC2:TGID_Z_EN: 0
; COMPUTE_PGM_RSRC2:TIDIG_COMP_CNT: 0
	.section	.text._ZL16k_set_rows_quantIl10block_q4_0Li32ETnPFvPKfPT0_EXadL_ZL23quantize_f32_q4_0_blockS2_PS0_EEEvS2_PKT_S4_llllllllllllll15HIP_vector_typeIjLj3EESC_SC_SC_SC_,"axG",@progbits,_ZL16k_set_rows_quantIl10block_q4_0Li32ETnPFvPKfPT0_EXadL_ZL23quantize_f32_q4_0_blockS2_PS0_EEEvS2_PKT_S4_llllllllllllll15HIP_vector_typeIjLj3EESC_SC_SC_SC_,comdat
	.globl	_ZL16k_set_rows_quantIl10block_q4_0Li32ETnPFvPKfPT0_EXadL_ZL23quantize_f32_q4_0_blockS2_PS0_EEEvS2_PKT_S4_llllllllllllll15HIP_vector_typeIjLj3EESC_SC_SC_SC_ ; -- Begin function _ZL16k_set_rows_quantIl10block_q4_0Li32ETnPFvPKfPT0_EXadL_ZL23quantize_f32_q4_0_blockS2_PS0_EEEvS2_PKT_S4_llllllllllllll15HIP_vector_typeIjLj3EESC_SC_SC_SC_
	.p2align	8
	.type	_ZL16k_set_rows_quantIl10block_q4_0Li32ETnPFvPKfPT0_EXadL_ZL23quantize_f32_q4_0_blockS2_PS0_EEEvS2_PKT_S4_llllllllllllll15HIP_vector_typeIjLj3EESC_SC_SC_SC_,@function
_ZL16k_set_rows_quantIl10block_q4_0Li32ETnPFvPKfPT0_EXadL_ZL23quantize_f32_q4_0_blockS2_PS0_EEEvS2_PKT_S4_llllllllllllll15HIP_vector_typeIjLj3EESC_SC_SC_SC_: ; @_ZL16k_set_rows_quantIl10block_q4_0Li32ETnPFvPKfPT0_EXadL_ZL23quantize_f32_q4_0_blockS2_PS0_EEEvS2_PKT_S4_llllllllllllll15HIP_vector_typeIjLj3EESC_SC_SC_SC_
; %bb.0:
	s_clause 0x1
	s_load_b32 s4, s[0:1], 0xd4
	s_load_b64 s[2:3], s[0:1], 0x18
	s_bfe_u32 s5, ttmp6, 0x4000c
	s_and_b32 s6, ttmp6, 15
	s_add_co_i32 s5, s5, 1
	s_getreg_b32 s7, hwreg(HW_REG_IB_STS2, 6, 4)
	s_mul_i32 s5, ttmp9, s5
	v_mov_b32_e32 v1, 0
	s_add_co_i32 s6, s6, s5
	s_wait_kmcnt 0x0
	s_and_b32 s4, s4, 0xffff
	s_cmp_eq_u32 s7, 0
	s_cselect_b32 s5, ttmp9, s6
	s_delay_alu instid0(SALU_CYCLE_1) | instskip(NEXT) | instid1(VALU_DEP_1)
	v_mad_nc_u64_u32 v[2:3], s4, s5, v[0:1]
	v_cmp_gt_i64_e32 vcc_lo, s[2:3], v[2:3]
	s_and_saveexec_b32 s2, vcc_lo
	s_cbranch_execz .LBB3_2
; %bb.1:
	s_load_b256 s[20:27], s[0:1], 0x88
	v_lshlrev_b32_e32 v0, 5, v2
	s_clause 0x1
	s_load_b128 s[28:31], s[0:1], 0xa8
	s_load_b512 s[4:19], s[0:1], 0x40
	v_dual_mov_b32 v11, v1 :: v_dual_mov_b32 v35, v1
	v_mov_b32_e32 v37, v1
	s_load_b64 s[2:3], s[0:1], 0x10
	v_mov_b32_e32 v19, v1
	s_wait_kmcnt 0x0
	v_mul_hi_u32 v2, s20, v0
	s_delay_alu instid0(VALU_DEP_1) | instskip(NEXT) | instid1(VALU_DEP_1)
	v_add_nc_u32_e32 v2, v0, v2
	v_lshrrev_b32_e32 v8, s21, v2
	s_delay_alu instid0(VALU_DEP_1) | instskip(NEXT) | instid1(VALU_DEP_1)
	v_mul_hi_u32 v2, v8, s23
	v_add_nc_u32_e32 v2, v8, v2
	s_delay_alu instid0(VALU_DEP_1) | instskip(NEXT) | instid1(VALU_DEP_1)
	v_lshrrev_b32_e32 v4, s24, v2
	v_mul_hi_u32 v2, v4, s26
	s_delay_alu instid0(VALU_DEP_1) | instskip(NEXT) | instid1(VALU_DEP_1)
	v_add_nc_u32_e32 v2, v4, v2
	v_lshrrev_b32_e32 v36, s27, v2
	v_mul_lo_u32 v3, v4, s25
	s_delay_alu instid0(VALU_DEP_2) | instskip(SKIP_1) | instid1(VALU_DEP_3)
	v_mul_lo_u32 v5, v36, s28
	v_mul_u64_e32 v[6:7], s[8:9], v[36:37]
	v_sub_nc_u32_e32 v10, v8, v3
	v_mul_lo_u32 v8, v8, s22
	s_load_b96 s[20:22], s[0:1], 0xb8
	s_delay_alu instid0(VALU_DEP_4) | instskip(NEXT) | instid1(VALU_DEP_3)
	v_sub_nc_u32_e32 v34, v4, v5
	v_mul_u64_e32 v[2:3], s[4:5], v[10:11]
	v_mul_u64_e32 v[10:11], s[10:11], v[10:11]
	s_delay_alu instid0(VALU_DEP_3)
	v_mul_u64_e32 v[4:5], s[6:7], v[34:35]
	s_load_b128 s[4:7], s[0:1], 0x0
	v_sub_nc_u32_e32 v0, v0, v8
	s_wait_xcnt 0x0
	s_load_b64 s[0:1], s[0:1], 0x80
	s_wait_kmcnt 0x0
	v_mul_hi_u32 v12, v36, s20
	v_lshl_add_u64 v[2:3], v[2:3], 2, s[4:5]
	v_lshl_add_u64 v[10:11], v[10:11], 3, s[6:7]
	s_delay_alu instid0(VALU_DEP_2) | instskip(NEXT) | instid1(VALU_DEP_1)
	v_lshl_add_u64 v[2:3], v[4:5], 2, v[2:3]
	v_lshl_add_u64 v[2:3], v[6:7], 2, v[2:3]
	s_delay_alu instid0(VALU_DEP_1)
	v_lshl_add_u64 v[38:39], v[0:1], 2, v[2:3]
	s_clause 0x2
	global_load_b128 v[22:25], v[38:39], off
	global_load_b128 v[14:17], v[38:39], off offset:16
	global_load_b128 v[6:9], v[38:39], off offset:32
	v_mul_hi_u32 v2, v34, s29
	global_load_b128 v[30:33], v[38:39], off offset:64
	v_add_nc_u32_e32 v13, v34, v2
	global_load_b128 v[2:5], v[38:39], off offset:48
	v_add_nc_u32_e32 v12, v36, v12
	v_dual_lshrrev_b32 v0, 5, v0 :: v_dual_lshrrev_b32 v13, s30, v13
	s_delay_alu instid0(VALU_DEP_2) | instskip(NEXT) | instid1(VALU_DEP_2)
	v_lshrrev_b32_e32 v12, s21, v12
	v_mul_lo_u32 v18, v13, s31
	v_mov_b32_e32 v13, v1
	s_delay_alu instid0(VALU_DEP_3) | instskip(NEXT) | instid1(VALU_DEP_3)
	v_mul_lo_u32 v20, v12, s22
	v_sub_nc_u32_e32 v12, v34, v18
	s_delay_alu instid0(VALU_DEP_1) | instskip(NEXT) | instid1(VALU_DEP_1)
	v_mul_u64_e32 v[12:13], s[12:13], v[12:13]
	v_lshl_add_u64 v[10:11], v[12:13], 3, v[10:11]
	s_wait_loadcnt 0x4
	v_cmp_lg_f32_e32 vcc_lo, 0, v22
	v_dual_cndmask_b32 v35, 0, v22 :: v_dual_sub_nc_u32 v18, v36, v20
	s_delay_alu instid0(VALU_DEP_1) | instskip(SKIP_1) | instid1(VALU_DEP_1)
	v_mul_u64_e32 v[18:19], s[14:15], v[18:19]
	v_cndmask_b32_e64 v37, 0, |v22|, vcc_lo
	v_cmp_lt_f32_e64 vcc_lo, v37, |v23|
	s_delay_alu instid0(VALU_DEP_1) | instskip(SKIP_1) | instid1(VALU_DEP_2)
	v_cndmask_b32_e64 v37, v37, |v23|, vcc_lo
	v_cndmask_b32_e32 v35, v35, v23, vcc_lo
	v_cmp_lt_f32_e64 vcc_lo, v37, |v24|
	s_delay_alu instid0(VALU_DEP_1)
	v_cndmask_b32_e64 v37, v37, |v24|, vcc_lo
	v_lshl_add_u64 v[40:41], v[18:19], 3, v[10:11]
	global_load_b64 v[42:43], v[40:41], off
	s_clause 0x2
	global_load_b128 v[26:29], v[38:39], off offset:80
	global_load_b128 v[18:21], v[38:39], off offset:96
	;; [unrolled: 1-line block ×3, first 2 shown]
	v_cndmask_b32_e32 v35, v35, v24, vcc_lo
	v_cmp_lt_f32_e64 vcc_lo, v37, |v25|
	s_wait_xcnt 0x3
	v_mov_b32_e32 v41, v1
	s_delay_alu instid0(VALU_DEP_2) | instskip(SKIP_2) | instid1(VALU_DEP_2)
	v_cndmask_b32_e64 v37, v37, |v25|, vcc_lo
	v_cndmask_b32_e32 v35, v35, v25, vcc_lo
	s_wait_loadcnt 0x7
	v_cmp_lt_f32_e64 vcc_lo, v37, |v14|
	s_delay_alu instid0(VALU_DEP_1) | instskip(NEXT) | instid1(VALU_DEP_3)
	v_cndmask_b32_e64 v37, v37, |v14|, vcc_lo
	v_cndmask_b32_e32 v35, v35, v14, vcc_lo
	s_delay_alu instid0(VALU_DEP_2) | instskip(NEXT) | instid1(VALU_DEP_1)
	v_cmp_lt_f32_e64 vcc_lo, v37, |v15|
	v_cndmask_b32_e64 v37, v37, |v15|, vcc_lo
	s_delay_alu instid0(VALU_DEP_3) | instskip(NEXT) | instid1(VALU_DEP_2)
	v_cndmask_b32_e32 v35, v35, v15, vcc_lo
	v_cmp_lt_f32_e64 vcc_lo, v37, |v16|
	s_delay_alu instid0(VALU_DEP_1) | instskip(NEXT) | instid1(VALU_DEP_3)
	v_cndmask_b32_e64 v37, v37, |v16|, vcc_lo
	v_cndmask_b32_e32 v35, v35, v16, vcc_lo
	s_delay_alu instid0(VALU_DEP_2) | instskip(NEXT) | instid1(VALU_DEP_1)
	v_cmp_lt_f32_e64 vcc_lo, v37, |v17|
	v_cndmask_b32_e64 v37, v37, |v17|, vcc_lo
	s_delay_alu instid0(VALU_DEP_3) | instskip(SKIP_1) | instid1(VALU_DEP_2)
	v_cndmask_b32_e32 v35, v35, v17, vcc_lo
	s_wait_loadcnt 0x6
	v_cmp_lt_f32_e64 vcc_lo, v37, |v6|
	s_delay_alu instid0(VALU_DEP_1) | instskip(NEXT) | instid1(VALU_DEP_3)
	v_cndmask_b32_e64 v37, v37, |v6|, vcc_lo
	v_cndmask_b32_e32 v35, v35, v6, vcc_lo
	s_delay_alu instid0(VALU_DEP_2) | instskip(NEXT) | instid1(VALU_DEP_1)
	v_cmp_lt_f32_e64 vcc_lo, v37, |v7|
	v_cndmask_b32_e64 v37, v37, |v7|, vcc_lo
	s_delay_alu instid0(VALU_DEP_3) | instskip(NEXT) | instid1(VALU_DEP_2)
	v_cndmask_b32_e32 v35, v35, v7, vcc_lo
	v_cmp_lt_f32_e64 vcc_lo, v37, |v8|
	s_delay_alu instid0(VALU_DEP_1) | instskip(NEXT) | instid1(VALU_DEP_3)
	v_cndmask_b32_e64 v37, v37, |v8|, vcc_lo
	v_cndmask_b32_e32 v35, v35, v8, vcc_lo
	s_delay_alu instid0(VALU_DEP_2) | instskip(NEXT) | instid1(VALU_DEP_1)
	v_cmp_lt_f32_e64 vcc_lo, v37, |v9|
	v_cndmask_b32_e64 v37, v37, |v9|, vcc_lo
	s_delay_alu instid0(VALU_DEP_3) | instskip(SKIP_1) | instid1(VALU_DEP_2)
	v_cndmask_b32_e32 v35, v35, v9, vcc_lo
	s_wait_loadcnt 0x4
	v_cmp_lt_f32_e64 vcc_lo, v37, |v2|
	s_delay_alu instid0(VALU_DEP_1) | instskip(NEXT) | instid1(VALU_DEP_3)
	v_cndmask_b32_e64 v37, v37, |v2|, vcc_lo
	v_cndmask_b32_e32 v35, v35, v2, vcc_lo
	s_delay_alu instid0(VALU_DEP_2) | instskip(NEXT) | instid1(VALU_DEP_1)
	v_cmp_lt_f32_e64 vcc_lo, v37, |v3|
	v_cndmask_b32_e64 v37, v37, |v3|, vcc_lo
	s_delay_alu instid0(VALU_DEP_3) | instskip(NEXT) | instid1(VALU_DEP_2)
	v_cndmask_b32_e32 v35, v35, v3, vcc_lo
	v_cmp_lt_f32_e64 vcc_lo, v37, |v4|
	s_delay_alu instid0(VALU_DEP_1) | instskip(NEXT) | instid1(VALU_DEP_3)
	v_cndmask_b32_e64 v37, v37, |v4|, vcc_lo
	v_cndmask_b32_e32 v35, v35, v4, vcc_lo
	s_delay_alu instid0(VALU_DEP_2) | instskip(NEXT) | instid1(VALU_DEP_1)
	v_cmp_lt_f32_e64 vcc_lo, v37, |v5|
	v_cndmask_b32_e64 v37, v37, |v5|, vcc_lo
	s_delay_alu instid0(VALU_DEP_3) | instskip(NEXT) | instid1(VALU_DEP_2)
	v_cndmask_b32_e32 v35, v35, v5, vcc_lo
	;; [unrolled: 9-line block ×3, first 2 shown]
	v_cmp_lt_f32_e64 vcc_lo, v37, |v32|
	s_delay_alu instid0(VALU_DEP_1) | instskip(NEXT) | instid1(VALU_DEP_3)
	v_cndmask_b32_e64 v37, v37, |v32|, vcc_lo
	v_cndmask_b32_e32 v35, v35, v32, vcc_lo
	s_delay_alu instid0(VALU_DEP_2) | instskip(NEXT) | instid1(VALU_DEP_1)
	v_cmp_lt_f32_e64 vcc_lo, v37, |v33|
	v_cndmask_b32_e64 v37, v37, |v33|, vcc_lo
	s_delay_alu instid0(VALU_DEP_3)
	v_cndmask_b32_e32 v35, v35, v33, vcc_lo
	s_wait_loadcnt 0x3
	s_wait_xcnt 0x0
	v_mul_u64_e32 v[38:39], s[16:17], v[42:43]
	s_wait_loadcnt 0x2
	v_cmp_lt_f32_e64 vcc_lo, v37, |v26|
	s_delay_alu instid0(VALU_DEP_1) | instskip(SKIP_1) | instid1(VALU_DEP_2)
	v_cndmask_b32_e64 v37, v37, |v26|, vcc_lo
	v_cndmask_b32_e32 v35, v35, v26, vcc_lo
	v_cmp_lt_f32_e64 vcc_lo, v37, |v27|
	s_delay_alu instid0(VALU_DEP_1) | instskip(NEXT) | instid1(VALU_DEP_3)
	v_cndmask_b32_e64 v37, v37, |v27|, vcc_lo
	v_cndmask_b32_e32 v35, v35, v27, vcc_lo
	s_delay_alu instid0(VALU_DEP_2) | instskip(NEXT) | instid1(VALU_DEP_1)
	v_cmp_lt_f32_e64 vcc_lo, v37, |v28|
	v_cndmask_b32_e64 v37, v37, |v28|, vcc_lo
	s_delay_alu instid0(VALU_DEP_3) | instskip(NEXT) | instid1(VALU_DEP_2)
	v_cndmask_b32_e32 v35, v35, v28, vcc_lo
	v_cmp_lt_f32_e64 vcc_lo, v37, |v29|
	v_mad_nc_u64_u32 v[38:39], s0, v36, v[38:39]
	s_delay_alu instid0(VALU_DEP_2) | instskip(NEXT) | instid1(VALU_DEP_4)
	v_cndmask_b32_e64 v40, v37, |v29|, vcc_lo
	v_cndmask_b32_e32 v35, v35, v29, vcc_lo
	s_wait_loadcnt 0x1
	s_delay_alu instid0(VALU_DEP_2) | instskip(NEXT) | instid1(VALU_DEP_4)
	v_cmp_lt_f32_e64 vcc_lo, v40, |v18|
	v_mad_u32 v39, s1, v36, v39
	s_mov_b64 s[0:1], 0x8e38e38f
	v_cndmask_b32_e32 v35, v35, v18, vcc_lo
	s_delay_alu instid0(VALU_DEP_2) | instskip(SKIP_1) | instid1(VALU_DEP_1)
	v_mad_nc_u64_u32 v[36:37], s18, v34, v[38:39]
	v_cndmask_b32_e64 v38, v40, |v18|, vcc_lo
	v_cmp_lt_f32_e64 vcc_lo, v38, |v19|
	s_delay_alu instid0(VALU_DEP_4) | instskip(NEXT) | instid1(VALU_DEP_4)
	v_cndmask_b32_e32 v39, v35, v19, vcc_lo
	v_mad_u32 v42, s19, v34, v37
	v_mov_b32_e32 v37, v1
	s_delay_alu instid0(VALU_DEP_4) | instskip(NEXT) | instid1(VALU_DEP_2)
	v_cndmask_b32_e64 v38, v38, |v19|, vcc_lo
	v_mul_u64_e32 v[34:35], s[0:1], v[36:37]
	s_delay_alu instid0(VALU_DEP_2) | instskip(SKIP_4) | instid1(VALU_DEP_3)
	v_cmp_lt_f32_e64 vcc_lo, v38, |v20|
	s_mov_b32 s0, 0xbe000000
	v_cndmask_b32_e64 v37, v38, |v20|, vcc_lo
	v_mov_b32_e32 v38, v35
	v_dual_cndmask_b32 v34, v39, v20 :: v_dual_mov_b32 v39, v1
	v_cmp_lt_f32_e64 vcc_lo, v37, |v21|
	s_delay_alu instid0(VALU_DEP_2) | instskip(NEXT) | instid1(VALU_DEP_2)
	v_mad_nc_u64_u32 v[38:39], 0x8e38e38f, v42, v[38:39]
	v_cndmask_b32_e64 v37, v37, |v21|, vcc_lo
	s_delay_alu instid0(VALU_DEP_2) | instskip(SKIP_1) | instid1(VALU_DEP_2)
	v_dual_mov_b32 v40, v39 :: v_dual_cndmask_b32 v34, v34, v21, vcc_lo
	s_wait_loadcnt 0x0
	v_cmp_lt_f32_e64 vcc_lo, v37, |v10|
	v_mov_b32_e32 v39, v1
	s_delay_alu instid0(VALU_DEP_2) | instskip(SKIP_1) | instid1(VALU_DEP_2)
	v_cndmask_b32_e64 v37, v37, |v10|, vcc_lo
	v_cndmask_b32_e32 v34, v34, v10, vcc_lo
	v_cmp_lt_f32_e64 vcc_lo, v37, |v11|
	s_delay_alu instid0(VALU_DEP_1) | instskip(NEXT) | instid1(VALU_DEP_3)
	v_cndmask_b32_e64 v35, v37, |v11|, vcc_lo
	v_cndmask_b32_e32 v34, v34, v11, vcc_lo
	v_mad_nc_u64_u32 v[36:37], 0xe38e38e3, v36, v[38:39]
	s_delay_alu instid0(VALU_DEP_3) | instskip(NEXT) | instid1(VALU_DEP_1)
	v_cmp_lt_f32_e64 vcc_lo, v35, |v12|
	v_cndmask_b32_e64 v35, v35, |v12|, vcc_lo
	s_delay_alu instid0(VALU_DEP_3) | instskip(NEXT) | instid1(VALU_DEP_2)
	v_dual_cndmask_b32 v34, v34, v12, vcc_lo :: v_dual_mov_b32 v38, v37
	v_cmp_lt_f32_e64 vcc_lo, v35, |v13|
	s_delay_alu instid0(VALU_DEP_2) | instskip(NEXT) | instid1(VALU_DEP_3)
	v_add_nc_u64_e32 v[36:37], v[40:41], v[38:39]
	v_cndmask_b32_e32 v34, v34, v13, vcc_lo
	s_delay_alu instid0(VALU_DEP_1) | instskip(NEXT) | instid1(VALU_DEP_3)
	v_mul_f32_e32 v35, 0xbe000000, v34
	v_mad_nc_u64_u32 v[36:37], 0xe38e38e3, v42, v[36:37]
	s_delay_alu instid0(VALU_DEP_2) | instskip(SKIP_1) | instid1(VALU_DEP_2)
	v_div_scale_f32 v43, null, v35, v35, 1.0
	v_div_scale_f32 v40, vcc_lo, 1.0, v35, 1.0
	v_rcp_f32_e32 v1, v43
	s_delay_alu instid0(VALU_DEP_3) | instskip(SKIP_1) | instid1(TRANS32_DEP_1)
	v_alignbit_b32 v36, v37, v36, 4
	v_lshrrev_b32_e32 v37, 4, v37
	v_fma_f32 v38, -v43, v1, 1.0
	s_delay_alu instid0(VALU_DEP_1) | instskip(NEXT) | instid1(VALU_DEP_1)
	v_fmac_f32_e32 v1, v38, v1
	v_mul_f32_e32 v41, v40, v1
	s_delay_alu instid0(VALU_DEP_1) | instskip(NEXT) | instid1(VALU_DEP_1)
	v_fma_f32 v38, -v43, v41, v40
	v_fmac_f32_e32 v41, v38, v1
	v_mad_nc_u64_u32 v[38:39], v36, 18, s[2:3]
	s_delay_alu instid0(VALU_DEP_2) | instskip(NEXT) | instid1(VALU_DEP_1)
	v_fma_f32 v36, -v43, v41, v40
	v_div_fmas_f32 v1, v36, v1, v41
	v_cmp_neq_f32_e32 vcc_lo, 0, v35
	s_delay_alu instid0(VALU_DEP_4) | instskip(NEXT) | instid1(VALU_DEP_3)
	v_mad_u32 v39, v37, 18, v39
	v_div_fixup_f32 v1, v1, v35, 1.0
	s_delay_alu instid0(VALU_DEP_1) | instskip(NEXT) | instid1(VALU_DEP_3)
	v_cndmask_b32_e32 v35, 0, v1, vcc_lo
	v_mad_nc_u64_u32 v[0:1], v0, 18, v[38:39]
	s_delay_alu instid0(VALU_DEP_2) | instskip(SKIP_2) | instid1(VALU_DEP_3)
	v_dual_fmaak_f32 v30, v30, v35, 0x41080000 :: v_dual_fmaak_f32 v31, v31, v35, 0x41080000
	v_dual_fmaak_f32 v21, v21, v35, 0x41080000 :: v_dual_fmaak_f32 v40, v2, v35, 0x41080000
	;; [unrolled: 1-line block ×3, first 2 shown]
	v_cvt_i32_f32_e32 v2, v30
	v_dual_fmaak_f32 v32, v32, v35, 0x41080000 :: v_dual_fmaak_f32 v33, v33, v35, 0x41080000
	v_dual_fmaak_f32 v36, v14, v35, 0x41080000 :: v_dual_fmaak_f32 v27, v27, v35, 0x41080000
	s_delay_alu instid0(VALU_DEP_3)
	v_cvt_f64_i32_e32 v[2:3], v2
	v_dual_fmaak_f32 v14, v26, v35, 0x41080000 :: v_dual_fmaak_f32 v37, v16, v35, 0x41080000
	v_dual_fmaak_f32 v26, v15, v35, 0x41080000 :: v_dual_fmaak_f32 v15, v28, v35, 0x41080000
	;; [unrolled: 1-line block ×7, first 2 shown]
	v_cvt_i32_f32_e32 v6, v32
	v_fmaak_f32 v32, v4, v35, 0x41080000
	v_cvt_i32_f32_e32 v4, v14
	v_cvt_i32_f32_e32 v10, v15
	;; [unrolled: 1-line block ×4, first 2 shown]
	v_fmaak_f32 v30, v11, v35, 0x41080000
	v_cvt_f64_i32_e32 v[8:9], v4
	v_cvt_i32_f32_e32 v4, v17
	v_cvt_f64_i32_e32 v[6:7], v6
	v_cvt_f64_i32_e32 v[10:11], v10
	;; [unrolled: 1-line block ×3, first 2 shown]
	v_fmaak_f32 v44, v5, v35, 0x41080000
	v_cvt_f64_i32_e32 v[16:17], v4
	v_cvt_f64_i32_e32 v[4:5], v41
	v_dual_fmaak_f32 v22, v22, v35, 0x41080000 :: v_dual_fmaak_f32 v23, v23, v35, 0x41080000
	v_min_num_f64_e32 v[2:3], 0x402e0000, v[2:3]
	v_dual_fmaak_f32 v24, v24, v35, 0x41080000 :: v_dual_fmaak_f32 v25, v25, v35, 0x41080000
	v_fmaak_f32 v35, v13, v35, 0x41080000
	s_delay_alu instid0(VALU_DEP_4)
	v_cvt_i32_f32_e32 v22, v22
	v_cvt_i32_f32_e32 v23, v23
	;; [unrolled: 1-line block ×16, first 2 shown]
	v_cvt_f64_i32_e32 v[18:19], v23
	v_cvt_f64_i32_e32 v[20:21], v31
	v_min_num_f64_e32 v[8:9], 0x402e0000, v[8:9]
	v_cvt_f64_i32_e32 v[26:27], v33
	v_min_num_f64_e32 v[6:7], 0x402e0000, v[6:7]
	v_min_num_f64_e32 v[10:11], 0x402e0000, v[10:11]
	;; [unrolled: 1-line block ×3, first 2 shown]
	v_cvt_f64_i32_e32 v[40:41], v35
	v_min_num_f64_e32 v[14:15], 0x402e0000, v[16:17]
	v_min_num_f64_e32 v[4:5], 0x402e0000, v[4:5]
	v_cvt_f64_i32_e32 v[16:17], v22
	v_cvt_f64_i32_e32 v[22:23], v24
	;; [unrolled: 1-line block ×3, first 2 shown]
	v_cvt_i32_f64_e32 v35, v[2:3]
	v_cvt_f64_i32_e32 v[2:3], v56
	v_cvt_i32_f32_e32 v55, v37
	v_cvt_i32_f32_e32 v57, v38
	;; [unrolled: 1-line block ×8, first 2 shown]
	v_cvt_f64_i32_e32 v[28:29], v36
	v_cvt_f64_i32_e32 v[42:43], v45
	;; [unrolled: 1-line block ×8, first 2 shown]
	v_min_num_f64_e32 v[18:19], 0x402e0000, v[18:19]
	v_min_num_f64_e32 v[20:21], 0x402e0000, v[20:21]
	;; [unrolled: 1-line block ×3, first 2 shown]
	v_cvt_i32_f64_e32 v56, v[6:7]
	v_cvt_f64_i32_e32 v[6:7], v54
	v_cvt_i32_f64_e32 v54, v[8:9]
	v_cvt_f64_i32_e32 v[8:9], v55
	;; [unrolled: 2-line block ×6, first 2 shown]
	v_min_num_f64_e32 v[2:3], 0x402e0000, v[2:3]
	v_min_num_f64_e32 v[24:25], 0x402e0000, v[24:25]
	v_min_num_f64_e32 v[16:17], 0x402e0000, v[16:17]
	v_min_num_f64_e32 v[22:23], 0x402e0000, v[22:23]
	v_min_num_f64_e32 v[40:41], 0x402e0000, v[40:41]
	v_min_num_f64_e32 v[28:29], 0x402e0000, v[28:29]
	v_min_num_f64_e32 v[42:43], 0x402e0000, v[42:43]
	v_min_num_f64_e32 v[32:33], 0x402e0000, v[32:33]
	v_min_num_f64_e32 v[36:37], 0x402e0000, v[36:37]
	v_min_num_f64_e32 v[30:31], 0x402e0000, v[30:31]
	v_min_num_f64_e32 v[48:49], 0x402e0000, v[48:49]
	v_min_num_f64_e32 v[50:51], 0x402e0000, v[50:51]
	v_min_num_f64_e32 v[52:53], 0x402e0000, v[52:53]
	v_min_num_f64_e32 v[6:7], 0x402e0000, v[6:7]
	v_min_num_f64_e32 v[8:9], 0x402e0000, v[8:9]
	v_min_num_f64_e32 v[10:11], 0x402e0000, v[10:11]
	v_min_num_f64_e32 v[12:13], 0x402e0000, v[12:13]
	v_min_num_f64_e32 v[14:15], 0x402e0000, v[14:15]
	v_min_num_f64_e32 v[4:5], 0x402e0000, v[4:5]
	v_cvt_i32_f64_e32 v2, v[2:3]
	v_cvt_i32_f64_e32 v3, v[18:19]
	;; [unrolled: 1-line block ×8, first 2 shown]
	v_lshlrev_b16 v21, 4, v59
	v_cvt_i32_f64_e32 v30, v[30:31]
	v_cvt_i32_f64_e32 v31, v[32:33]
	;; [unrolled: 1-line block ×11, first 2 shown]
	v_lshlrev_b16 v11, 4, v56
	v_cvt_i32_f64_e32 v9, v[12:13]
	v_lshlrev_b16 v12, 4, v54
	v_cvt_i32_f64_e32 v10, v[14:15]
	;; [unrolled: 2-line block ×3, first 2 shown]
	v_lshlrev_b16 v5, 4, v35
	v_lshlrev_b16 v3, 8, v3
	;; [unrolled: 1-line block ×5, first 2 shown]
	v_or_b32_e32 v5, v5, v16
	v_or_b32_e32 v11, v11, v17
	;; [unrolled: 1-line block ×3, first 2 shown]
	v_lshlrev_b16 v14, 4, v57
	v_or_b32_e32 v17, v20, v19
	v_lshlrev_b16 v15, 4, v58
	v_lshlrev_b16 v22, 4, v30
	v_bitop3_b16 v3, v5, v3, 0xff bitop3:0xec
	v_lshlrev_b16 v23, 8, v31
	v_bitop3_b16 v5, v11, v17, 0xff bitop3:0xec
	v_lshlrev_b16 v24, 12, v32
	v_lshlrev_b16 v26, 12, v36
	;; [unrolled: 1-line block ×4, first 2 shown]
	v_lshlrev_b32_e32 v11, 16, v5
	v_cvt_i32_f32_e32 v39, v44
	v_cvt_f64_i32_e32 v[44:45], v46
	v_cvt_f64_i32_e32 v[46:47], v47
	v_lshlrev_b16 v28, 8, v28
	v_lshlrev_b16 v29, 12, v29
	v_cvt_f64_i32_e32 v[38:39], v39
	v_lshlrev_b16 v2, 12, v2
	v_or_b32_e32 v6, v12, v6
	v_or_b32_e32 v7, v13, v7
	;; [unrolled: 1-line block ×8, first 2 shown]
	s_delay_alu instid0(VALU_DEP_2) | instskip(NEXT) | instid1(VALU_DEP_2)
	v_bitop3_b16 v10, v10, v12, 0xff bitop3:0xec
	v_bitop3_b16 v6, v6, v16, 0xff bitop3:0xec
	v_fma_mixlo_f16 v12, v34, s0, 0
	s_delay_alu instid0(VALU_DEP_2) | instskip(SKIP_3) | instid1(VALU_DEP_1)
	v_and_b32_e32 v6, 0xffff, v6
	v_min_num_f64_e32 v[44:45], 0x402e0000, v[44:45]
	v_min_num_f64_e32 v[46:47], 0x402e0000, v[46:47]
	;; [unrolled: 1-line block ×3, first 2 shown]
	v_cvt_i32_f64_e32 v33, v[38:39]
	s_delay_alu instid0(VALU_DEP_4) | instskip(NEXT) | instid1(VALU_DEP_4)
	v_cvt_i32_f64_e32 v38, v[44:45]
	v_cvt_i32_f64_e32 v39, v[46:47]
	s_delay_alu instid0(VALU_DEP_3) | instskip(NEXT) | instid1(VALU_DEP_3)
	v_lshlrev_b16 v25, 8, v33
	v_lshlrev_b16 v30, 12, v38
	s_delay_alu instid0(VALU_DEP_3) | instskip(SKIP_1) | instid1(VALU_DEP_4)
	v_lshlrev_b16 v31, 8, v39
	v_lshlrev_b16 v33, 8, v41
	v_or_b32_e32 v13, v26, v25
	s_delay_alu instid0(VALU_DEP_4) | instskip(NEXT) | instid1(VALU_DEP_4)
	v_or_b32_e32 v14, v30, v27
	v_or_b32_e32 v15, v32, v31
	s_delay_alu instid0(VALU_DEP_4) | instskip(NEXT) | instid1(VALU_DEP_4)
	v_or_b32_e32 v2, v2, v33
	v_bitop3_b16 v4, v4, v13, 0xff bitop3:0xec
	s_delay_alu instid0(VALU_DEP_4) | instskip(NEXT) | instid1(VALU_DEP_4)
	v_bitop3_b16 v8, v8, v14, 0xff bitop3:0xec
	v_bitop3_b16 v9, v9, v15, 0xff bitop3:0xec
	s_delay_alu instid0(VALU_DEP_4) | instskip(SKIP_3) | instid1(VALU_DEP_4)
	v_bitop3_b16 v2, v7, v2, 0xff bitop3:0xec
	v_and_b32_e32 v7, 0xffff, v10
	v_lshlrev_b32_e32 v4, 16, v4
	v_and_b32_e32 v8, 0xffff, v8
	v_dual_lshlrev_b32 v9, 16, v9 :: v_dual_lshlrev_b32 v2, 16, v2
	v_and_b32_e32 v10, 0xffff, v3
	s_delay_alu instid0(VALU_DEP_4) | instskip(NEXT) | instid1(VALU_DEP_3)
	v_or_b32_e32 v5, v7, v4
	v_or_b32_e32 v4, v8, v9
	s_delay_alu instid0(VALU_DEP_4) | instskip(NEXT) | instid1(VALU_DEP_4)
	v_or_b32_e32 v3, v6, v2
	v_or_b32_e32 v2, v10, v11
	s_clause 0x1
	global_store_b16 v[0:1], v12, off
	global_store_b128 v[0:1], v[2:5], off offset:2
.LBB3_2:
	s_endpgm
	.section	.rodata,"a",@progbits
	.p2align	6, 0x0
	.amdhsa_kernel _ZL16k_set_rows_quantIl10block_q4_0Li32ETnPFvPKfPT0_EXadL_ZL23quantize_f32_q4_0_blockS2_PS0_EEEvS2_PKT_S4_llllllllllllll15HIP_vector_typeIjLj3EESC_SC_SC_SC_
		.amdhsa_group_segment_fixed_size 0
		.amdhsa_private_segment_fixed_size 0
		.amdhsa_kernarg_size 456
		.amdhsa_user_sgpr_count 2
		.amdhsa_user_sgpr_dispatch_ptr 0
		.amdhsa_user_sgpr_queue_ptr 0
		.amdhsa_user_sgpr_kernarg_segment_ptr 1
		.amdhsa_user_sgpr_dispatch_id 0
		.amdhsa_user_sgpr_kernarg_preload_length 0
		.amdhsa_user_sgpr_kernarg_preload_offset 0
		.amdhsa_user_sgpr_private_segment_size 0
		.amdhsa_wavefront_size32 1
		.amdhsa_uses_dynamic_stack 0
		.amdhsa_enable_private_segment 0
		.amdhsa_system_sgpr_workgroup_id_x 1
		.amdhsa_system_sgpr_workgroup_id_y 0
		.amdhsa_system_sgpr_workgroup_id_z 0
		.amdhsa_system_sgpr_workgroup_info 0
		.amdhsa_system_vgpr_workitem_id 0
		.amdhsa_next_free_vgpr 61
		.amdhsa_next_free_sgpr 32
		.amdhsa_named_barrier_count 0
		.amdhsa_reserve_vcc 1
		.amdhsa_float_round_mode_32 0
		.amdhsa_float_round_mode_16_64 0
		.amdhsa_float_denorm_mode_32 3
		.amdhsa_float_denorm_mode_16_64 3
		.amdhsa_fp16_overflow 0
		.amdhsa_memory_ordered 1
		.amdhsa_forward_progress 1
		.amdhsa_inst_pref_size 25
		.amdhsa_round_robin_scheduling 0
		.amdhsa_exception_fp_ieee_invalid_op 0
		.amdhsa_exception_fp_denorm_src 0
		.amdhsa_exception_fp_ieee_div_zero 0
		.amdhsa_exception_fp_ieee_overflow 0
		.amdhsa_exception_fp_ieee_underflow 0
		.amdhsa_exception_fp_ieee_inexact 0
		.amdhsa_exception_int_div_zero 0
	.end_amdhsa_kernel
	.section	.text._ZL16k_set_rows_quantIl10block_q4_0Li32ETnPFvPKfPT0_EXadL_ZL23quantize_f32_q4_0_blockS2_PS0_EEEvS2_PKT_S4_llllllllllllll15HIP_vector_typeIjLj3EESC_SC_SC_SC_,"axG",@progbits,_ZL16k_set_rows_quantIl10block_q4_0Li32ETnPFvPKfPT0_EXadL_ZL23quantize_f32_q4_0_blockS2_PS0_EEEvS2_PKT_S4_llllllllllllll15HIP_vector_typeIjLj3EESC_SC_SC_SC_,comdat
.Lfunc_end3:
	.size	_ZL16k_set_rows_quantIl10block_q4_0Li32ETnPFvPKfPT0_EXadL_ZL23quantize_f32_q4_0_blockS2_PS0_EEEvS2_PKT_S4_llllllllllllll15HIP_vector_typeIjLj3EESC_SC_SC_SC_, .Lfunc_end3-_ZL16k_set_rows_quantIl10block_q4_0Li32ETnPFvPKfPT0_EXadL_ZL23quantize_f32_q4_0_blockS2_PS0_EEEvS2_PKT_S4_llllllllllllll15HIP_vector_typeIjLj3EESC_SC_SC_SC_
                                        ; -- End function
	.set _ZL16k_set_rows_quantIl10block_q4_0Li32ETnPFvPKfPT0_EXadL_ZL23quantize_f32_q4_0_blockS2_PS0_EEEvS2_PKT_S4_llllllllllllll15HIP_vector_typeIjLj3EESC_SC_SC_SC_.num_vgpr, 61
	.set _ZL16k_set_rows_quantIl10block_q4_0Li32ETnPFvPKfPT0_EXadL_ZL23quantize_f32_q4_0_blockS2_PS0_EEEvS2_PKT_S4_llllllllllllll15HIP_vector_typeIjLj3EESC_SC_SC_SC_.num_agpr, 0
	.set _ZL16k_set_rows_quantIl10block_q4_0Li32ETnPFvPKfPT0_EXadL_ZL23quantize_f32_q4_0_blockS2_PS0_EEEvS2_PKT_S4_llllllllllllll15HIP_vector_typeIjLj3EESC_SC_SC_SC_.numbered_sgpr, 32
	.set _ZL16k_set_rows_quantIl10block_q4_0Li32ETnPFvPKfPT0_EXadL_ZL23quantize_f32_q4_0_blockS2_PS0_EEEvS2_PKT_S4_llllllllllllll15HIP_vector_typeIjLj3EESC_SC_SC_SC_.num_named_barrier, 0
	.set _ZL16k_set_rows_quantIl10block_q4_0Li32ETnPFvPKfPT0_EXadL_ZL23quantize_f32_q4_0_blockS2_PS0_EEEvS2_PKT_S4_llllllllllllll15HIP_vector_typeIjLj3EESC_SC_SC_SC_.private_seg_size, 0
	.set _ZL16k_set_rows_quantIl10block_q4_0Li32ETnPFvPKfPT0_EXadL_ZL23quantize_f32_q4_0_blockS2_PS0_EEEvS2_PKT_S4_llllllllllllll15HIP_vector_typeIjLj3EESC_SC_SC_SC_.uses_vcc, 1
	.set _ZL16k_set_rows_quantIl10block_q4_0Li32ETnPFvPKfPT0_EXadL_ZL23quantize_f32_q4_0_blockS2_PS0_EEEvS2_PKT_S4_llllllllllllll15HIP_vector_typeIjLj3EESC_SC_SC_SC_.uses_flat_scratch, 0
	.set _ZL16k_set_rows_quantIl10block_q4_0Li32ETnPFvPKfPT0_EXadL_ZL23quantize_f32_q4_0_blockS2_PS0_EEEvS2_PKT_S4_llllllllllllll15HIP_vector_typeIjLj3EESC_SC_SC_SC_.has_dyn_sized_stack, 0
	.set _ZL16k_set_rows_quantIl10block_q4_0Li32ETnPFvPKfPT0_EXadL_ZL23quantize_f32_q4_0_blockS2_PS0_EEEvS2_PKT_S4_llllllllllllll15HIP_vector_typeIjLj3EESC_SC_SC_SC_.has_recursion, 0
	.set _ZL16k_set_rows_quantIl10block_q4_0Li32ETnPFvPKfPT0_EXadL_ZL23quantize_f32_q4_0_blockS2_PS0_EEEvS2_PKT_S4_llllllllllllll15HIP_vector_typeIjLj3EESC_SC_SC_SC_.has_indirect_call, 0
	.section	.AMDGPU.csdata,"",@progbits
; Kernel info:
; codeLenInByte = 3080
; TotalNumSgprs: 34
; NumVgprs: 61
; ScratchSize: 0
; MemoryBound: 0
; FloatMode: 240
; IeeeMode: 1
; LDSByteSize: 0 bytes/workgroup (compile time only)
; SGPRBlocks: 0
; VGPRBlocks: 3
; NumSGPRsForWavesPerEU: 34
; NumVGPRsForWavesPerEU: 61
; NamedBarCnt: 0
; Occupancy: 16
; WaveLimiterHint : 1
; COMPUTE_PGM_RSRC2:SCRATCH_EN: 0
; COMPUTE_PGM_RSRC2:USER_SGPR: 2
; COMPUTE_PGM_RSRC2:TRAP_HANDLER: 0
; COMPUTE_PGM_RSRC2:TGID_X_EN: 1
; COMPUTE_PGM_RSRC2:TGID_Y_EN: 0
; COMPUTE_PGM_RSRC2:TGID_Z_EN: 0
; COMPUTE_PGM_RSRC2:TIDIG_COMP_CNT: 0
	.section	.text._ZL16k_set_rows_quantIl10block_q4_1Li32ETnPFvPKfPT0_EXadL_ZL23quantize_f32_q4_1_blockS2_PS0_EEEvS2_PKT_S4_llllllllllllll15HIP_vector_typeIjLj3EESC_SC_SC_SC_,"axG",@progbits,_ZL16k_set_rows_quantIl10block_q4_1Li32ETnPFvPKfPT0_EXadL_ZL23quantize_f32_q4_1_blockS2_PS0_EEEvS2_PKT_S4_llllllllllllll15HIP_vector_typeIjLj3EESC_SC_SC_SC_,comdat
	.globl	_ZL16k_set_rows_quantIl10block_q4_1Li32ETnPFvPKfPT0_EXadL_ZL23quantize_f32_q4_1_blockS2_PS0_EEEvS2_PKT_S4_llllllllllllll15HIP_vector_typeIjLj3EESC_SC_SC_SC_ ; -- Begin function _ZL16k_set_rows_quantIl10block_q4_1Li32ETnPFvPKfPT0_EXadL_ZL23quantize_f32_q4_1_blockS2_PS0_EEEvS2_PKT_S4_llllllllllllll15HIP_vector_typeIjLj3EESC_SC_SC_SC_
	.p2align	8
	.type	_ZL16k_set_rows_quantIl10block_q4_1Li32ETnPFvPKfPT0_EXadL_ZL23quantize_f32_q4_1_blockS2_PS0_EEEvS2_PKT_S4_llllllllllllll15HIP_vector_typeIjLj3EESC_SC_SC_SC_,@function
_ZL16k_set_rows_quantIl10block_q4_1Li32ETnPFvPKfPT0_EXadL_ZL23quantize_f32_q4_1_blockS2_PS0_EEEvS2_PKT_S4_llllllllllllll15HIP_vector_typeIjLj3EESC_SC_SC_SC_: ; @_ZL16k_set_rows_quantIl10block_q4_1Li32ETnPFvPKfPT0_EXadL_ZL23quantize_f32_q4_1_blockS2_PS0_EEEvS2_PKT_S4_llllllllllllll15HIP_vector_typeIjLj3EESC_SC_SC_SC_
; %bb.0:
	s_clause 0x1
	s_load_b32 s4, s[0:1], 0xd4
	s_load_b64 s[2:3], s[0:1], 0x18
	s_bfe_u32 s5, ttmp6, 0x4000c
	s_and_b32 s6, ttmp6, 15
	s_add_co_i32 s5, s5, 1
	s_getreg_b32 s7, hwreg(HW_REG_IB_STS2, 6, 4)
	s_mul_i32 s5, ttmp9, s5
	v_mov_b32_e32 v1, 0
	s_add_co_i32 s6, s6, s5
	s_wait_kmcnt 0x0
	s_and_b32 s4, s4, 0xffff
	s_cmp_eq_u32 s7, 0
	s_cselect_b32 s5, ttmp9, s6
	s_delay_alu instid0(SALU_CYCLE_1) | instskip(NEXT) | instid1(VALU_DEP_1)
	v_mad_nc_u64_u32 v[2:3], s4, s5, v[0:1]
	v_cmp_gt_i64_e32 vcc_lo, s[2:3], v[2:3]
	s_and_saveexec_b32 s2, vcc_lo
	s_cbranch_execz .LBB4_2
; %bb.1:
	s_load_b256 s[20:27], s[0:1], 0x88
	v_lshlrev_b32_e32 v0, 5, v2
	s_clause 0x1
	s_load_b128 s[28:31], s[0:1], 0xa8
	s_load_b512 s[4:19], s[0:1], 0x40
	v_dual_mov_b32 v3, v1 :: v_dual_mov_b32 v35, v1
	v_mov_b32_e32 v37, v1
	s_load_b64 s[2:3], s[0:1], 0x10
	s_wait_kmcnt 0x0
	v_mul_hi_u32 v2, s20, v0
	s_delay_alu instid0(VALU_DEP_1) | instskip(NEXT) | instid1(VALU_DEP_1)
	v_add_nc_u32_e32 v2, v0, v2
	v_lshrrev_b32_e32 v10, s21, v2
	s_delay_alu instid0(VALU_DEP_1) | instskip(NEXT) | instid1(VALU_DEP_1)
	v_mul_hi_u32 v2, v10, s23
	v_add_nc_u32_e32 v2, v10, v2
	s_delay_alu instid0(VALU_DEP_1) | instskip(NEXT) | instid1(VALU_DEP_1)
	v_lshrrev_b32_e32 v6, s24, v2
	v_mul_hi_u32 v2, v6, s26
	s_delay_alu instid0(VALU_DEP_1) | instskip(NEXT) | instid1(VALU_DEP_1)
	v_add_nc_u32_e32 v2, v6, v2
	v_lshrrev_b32_e32 v36, s27, v2
	v_mul_lo_u32 v4, v6, s25
	s_delay_alu instid0(VALU_DEP_2) | instskip(SKIP_1) | instid1(VALU_DEP_3)
	v_mul_lo_u32 v7, v36, s28
	v_mul_u64_e32 v[8:9], s[8:9], v[36:37]
	v_sub_nc_u32_e32 v2, v10, v4
	v_mul_lo_u32 v10, v10, s22
	s_load_b96 s[20:22], s[0:1], 0xb8
	s_delay_alu instid0(VALU_DEP_4) | instskip(NEXT) | instid1(VALU_DEP_3)
	v_sub_nc_u32_e32 v34, v6, v7
	v_mul_u64_e32 v[4:5], s[4:5], v[2:3]
	s_delay_alu instid0(VALU_DEP_2) | instskip(SKIP_1) | instid1(VALU_DEP_4)
	v_mul_u64_e32 v[6:7], s[6:7], v[34:35]
	s_load_b128 s[4:7], s[0:1], 0x0
	v_sub_nc_u32_e32 v0, v0, v10
	v_mul_u64_e32 v[10:11], s[10:11], v[2:3]
	s_wait_xcnt 0x0
	s_load_b64 s[0:1], s[0:1], 0x80
	s_wait_kmcnt 0x0
	s_delay_alu instid0(VALU_DEP_4) | instskip(NEXT) | instid1(VALU_DEP_1)
	v_lshl_add_u64 v[4:5], v[4:5], 2, s[4:5]
	v_lshl_add_u64 v[4:5], v[6:7], 2, v[4:5]
	s_delay_alu instid0(VALU_DEP_3) | instskip(NEXT) | instid1(VALU_DEP_2)
	v_lshl_add_u64 v[10:11], v[10:11], 3, s[6:7]
	v_lshl_add_u64 v[4:5], v[8:9], 2, v[4:5]
	s_delay_alu instid0(VALU_DEP_1)
	v_lshl_add_u64 v[38:39], v[0:1], 2, v[4:5]
	v_mul_hi_u32 v4, v34, s29
	v_mul_hi_u32 v5, v36, s20
	s_clause 0x3
	global_load_b128 v[22:25], v[38:39], off
	global_load_b128 v[14:17], v[38:39], off offset:16
	global_load_b128 v[6:9], v[38:39], off offset:32
	;; [unrolled: 1-line block ×3, first 2 shown]
	v_dual_add_nc_u32 v4, v34, v4 :: v_dual_add_nc_u32 v5, v36, v5
	s_delay_alu instid0(VALU_DEP_1) | instskip(NEXT) | instid1(VALU_DEP_1)
	v_lshrrev_b32_e32 v4, s30, v4
	v_mul_lo_u32 v4, v4, s31
	s_delay_alu instid0(VALU_DEP_1) | instskip(NEXT) | instid1(VALU_DEP_1)
	v_dual_lshrrev_b32 v5, s21, v5 :: v_dual_sub_nc_u32 v4, v34, v4
	v_mul_lo_u32 v12, v5, s22
	s_delay_alu instid0(VALU_DEP_1) | instskip(NEXT) | instid1(VALU_DEP_1)
	v_dual_mov_b32 v5, v1 :: v_dual_sub_nc_u32 v2, v36, v12
	v_mul_u64_e32 v[12:13], s[12:13], v[4:5]
	s_delay_alu instid0(VALU_DEP_2) | instskip(SKIP_2) | instid1(VALU_DEP_1)
	v_mul_u64_e32 v[18:19], s[14:15], v[2:3]
	global_load_b128 v[2:5], v[38:39], off offset:48
	v_lshl_add_u64 v[10:11], v[12:13], 3, v[10:11]
	v_lshl_add_u64 v[40:41], v[18:19], 3, v[10:11]
	global_load_b64 v[42:43], v[40:41], off
	s_clause 0x2
	global_load_b128 v[26:29], v[38:39], off offset:80
	global_load_b128 v[18:21], v[38:39], off offset:96
	;; [unrolled: 1-line block ×3, first 2 shown]
	s_wait_loadcnt 0x8
	v_cmp_gt_f32_e32 vcc_lo, 0x7f7fffff, v22
	v_cndmask_b32_e32 v35, 0x7f7fffff, v22, vcc_lo
	v_cmp_lt_f32_e32 vcc_lo, 0xff7fffff, v22
	v_cndmask_b32_e32 v37, 0xff7fffff, v22, vcc_lo
	s_delay_alu instid0(VALU_DEP_3) | instskip(SKIP_1) | instid1(VALU_DEP_3)
	v_cmp_gt_f32_e32 vcc_lo, v35, v23
	v_cndmask_b32_e32 v35, v35, v23, vcc_lo
	v_cmp_gt_f32_e32 vcc_lo, v23, v37
	v_cndmask_b32_e32 v37, v37, v23, vcc_lo
	s_delay_alu instid0(VALU_DEP_3) | instskip(SKIP_1) | instid1(VALU_DEP_3)
	v_cmp_gt_f32_e32 vcc_lo, v35, v24
	v_cndmask_b32_e32 v35, v35, v24, vcc_lo
	v_cmp_gt_f32_e32 vcc_lo, v24, v37
	;; [unrolled: 5-line block ×3, first 2 shown]
	v_cndmask_b32_e32 v37, v37, v25, vcc_lo
	s_wait_loadcnt 0x7
	s_delay_alu instid0(VALU_DEP_3) | instskip(SKIP_1) | instid1(VALU_DEP_3)
	v_cmp_gt_f32_e32 vcc_lo, v35, v14
	v_cndmask_b32_e32 v35, v35, v14, vcc_lo
	v_cmp_gt_f32_e32 vcc_lo, v14, v37
	v_cndmask_b32_e32 v37, v37, v14, vcc_lo
	s_delay_alu instid0(VALU_DEP_3) | instskip(SKIP_1) | instid1(VALU_DEP_3)
	v_cmp_gt_f32_e32 vcc_lo, v35, v15
	v_cndmask_b32_e32 v35, v35, v15, vcc_lo
	v_cmp_gt_f32_e32 vcc_lo, v15, v37
	v_cndmask_b32_e32 v37, v37, v15, vcc_lo
	s_delay_alu instid0(VALU_DEP_3) | instskip(SKIP_1) | instid1(VALU_DEP_3)
	v_cmp_gt_f32_e32 vcc_lo, v35, v16
	v_cndmask_b32_e32 v35, v35, v16, vcc_lo
	v_cmp_gt_f32_e32 vcc_lo, v16, v37
	s_wait_loadcnt 0x3
	s_wait_xcnt 0x0
	v_mul_u64_e32 v[38:39], s[16:17], v[42:43]
	v_cndmask_b32_e32 v37, v37, v16, vcc_lo
	v_cmp_gt_f32_e32 vcc_lo, v35, v17
	v_cndmask_b32_e32 v35, v35, v17, vcc_lo
	s_delay_alu instid0(VALU_DEP_3) | instskip(SKIP_1) | instid1(VALU_DEP_3)
	v_cmp_gt_f32_e32 vcc_lo, v17, v37
	v_cndmask_b32_e32 v37, v37, v17, vcc_lo
	v_cmp_gt_f32_e32 vcc_lo, v35, v6
	v_cndmask_b32_e32 v35, v35, v6, vcc_lo
	s_delay_alu instid0(VALU_DEP_3) | instskip(SKIP_1) | instid1(VALU_DEP_3)
	v_cmp_gt_f32_e32 vcc_lo, v6, v37
	v_cndmask_b32_e32 v37, v37, v6, vcc_lo
	v_cmp_lt_f32_e32 vcc_lo, v7, v35
	v_mad_nc_u64_u32 v[38:39], s0, v36, v[38:39]
	v_cndmask_b32_e32 v35, v35, v7, vcc_lo
	s_delay_alu instid0(VALU_DEP_4) | instskip(SKIP_1) | instid1(VALU_DEP_3)
	v_cmp_gt_f32_e32 vcc_lo, v7, v37
	v_cndmask_b32_e32 v37, v37, v7, vcc_lo
	v_cmp_gt_f32_e32 vcc_lo, v35, v8
	v_mad_u32 v39, s1, v36, v39
	s_mov_b64 s[0:1], 0xcccccccd
	v_cndmask_b32_e32 v35, v35, v8, vcc_lo
	v_cmp_gt_f32_e32 vcc_lo, v8, v37
	v_cndmask_b32_e32 v37, v37, v8, vcc_lo
	s_delay_alu instid0(VALU_DEP_3) | instskip(SKIP_1) | instid1(VALU_DEP_3)
	v_cmp_gt_f32_e32 vcc_lo, v35, v9
	v_cndmask_b32_e32 v35, v35, v9, vcc_lo
	v_cmp_gt_f32_e32 vcc_lo, v9, v37
	v_cndmask_b32_e32 v37, v37, v9, vcc_lo
	s_delay_alu instid0(VALU_DEP_3) | instskip(SKIP_1) | instid1(VALU_DEP_3)
	v_cmp_gt_f32_e32 vcc_lo, v35, v2
	;; [unrolled: 5-line block ×9, first 2 shown]
	v_cndmask_b32_e32 v35, v35, v33, vcc_lo
	v_cmp_gt_f32_e32 vcc_lo, v33, v37
	v_cndmask_b32_e32 v37, v37, v33, vcc_lo
	s_wait_loadcnt 0x2
	s_delay_alu instid0(VALU_DEP_3) | instskip(SKIP_1) | instid1(VALU_DEP_3)
	v_cmp_lt_f32_e32 vcc_lo, v26, v35
	v_cndmask_b32_e32 v35, v35, v26, vcc_lo
	v_cmp_gt_f32_e32 vcc_lo, v26, v37
	v_cndmask_b32_e32 v37, v37, v26, vcc_lo
	s_delay_alu instid0(VALU_DEP_3) | instskip(SKIP_1) | instid1(VALU_DEP_3)
	v_cmp_gt_f32_e32 vcc_lo, v35, v27
	v_cndmask_b32_e32 v35, v35, v27, vcc_lo
	v_cmp_gt_f32_e32 vcc_lo, v27, v37
	v_cndmask_b32_e32 v37, v37, v27, vcc_lo
	s_delay_alu instid0(VALU_DEP_3) | instskip(SKIP_1) | instid1(VALU_DEP_3)
	v_cmp_gt_f32_e32 vcc_lo, v35, v28
	;; [unrolled: 5-line block ×3, first 2 shown]
	v_cndmask_b32_e32 v35, v35, v29, vcc_lo
	v_cmp_gt_f32_e32 vcc_lo, v29, v37
	v_cndmask_b32_e32 v37, v37, v29, vcc_lo
	s_wait_loadcnt 0x1
	s_delay_alu instid0(VALU_DEP_3) | instskip(SKIP_1) | instid1(VALU_DEP_3)
	v_cmp_gt_f32_e32 vcc_lo, v35, v18
	v_cndmask_b32_e32 v35, v35, v18, vcc_lo
	v_cmp_gt_f32_e32 vcc_lo, v18, v37
	v_cndmask_b32_e32 v37, v37, v18, vcc_lo
	s_delay_alu instid0(VALU_DEP_3) | instskip(SKIP_1) | instid1(VALU_DEP_3)
	v_cmp_gt_f32_e32 vcc_lo, v35, v19
	v_cndmask_b32_e32 v35, v35, v19, vcc_lo
	v_cmp_gt_f32_e32 vcc_lo, v19, v37
	v_cndmask_b32_e32 v37, v37, v19, vcc_lo
	;; [unrolled: 5-line block ×4, first 2 shown]
	s_wait_loadcnt 0x0
	s_delay_alu instid0(VALU_DEP_3) | instskip(SKIP_4) | instid1(VALU_DEP_3)
	v_cmp_gt_f32_e32 vcc_lo, v35, v10
	v_mad_nc_u64_u32 v[36:37], s18, v34, v[38:39]
	v_cndmask_b32_e32 v35, v35, v10, vcc_lo
	v_cmp_gt_f32_e32 vcc_lo, v10, v40
	v_cndmask_b32_e32 v38, v40, v10, vcc_lo
	v_cmp_gt_f32_e32 vcc_lo, v35, v11
	v_mad_u32 v42, s19, v34, v37
	v_cndmask_b32_e32 v35, v35, v11, vcc_lo
	s_delay_alu instid0(VALU_DEP_4) | instskip(SKIP_1) | instid1(VALU_DEP_3)
	v_cmp_gt_f32_e32 vcc_lo, v11, v38
	v_cndmask_b32_e32 v38, v38, v11, vcc_lo
	v_cmp_gt_f32_e32 vcc_lo, v35, v12
	v_dual_mov_b32 v37, v1 :: v_dual_cndmask_b32 v39, v35, v12, vcc_lo
	s_delay_alu instid0(VALU_DEP_3) | instskip(NEXT) | instid1(VALU_DEP_2)
	v_cmp_gt_f32_e32 vcc_lo, v12, v38
	v_mul_u64_e32 v[34:35], s[0:1], v[36:37]
	v_cndmask_b32_e32 v38, v38, v12, vcc_lo
	s_delay_alu instid0(VALU_DEP_4) | instskip(SKIP_1) | instid1(VALU_DEP_3)
	v_cmp_gt_f32_e32 vcc_lo, v39, v13
	v_cndmask_b32_e32 v34, v39, v13, vcc_lo
	v_cmp_gt_f32_e32 vcc_lo, v13, v38
	s_delay_alu instid0(VALU_DEP_2) | instskip(SKIP_3) | instid1(VALU_DEP_3)
	v_sub_f32_e32 v18, v18, v34
	v_cndmask_b32_e32 v37, v38, v13, vcc_lo
	v_dual_sub_f32 v30, v30, v34 :: v_dual_sub_f32 v23, v23, v34
	v_dual_sub_f32 v32, v32, v34 :: v_dual_sub_f32 v33, v33, v34
	;; [unrolled: 1-line block ×3, first 2 shown]
	v_sub_f32_e32 v22, v22, v34
	v_dual_sub_f32 v2, v2, v34 :: v_dual_sub_f32 v3, v3, v34
	s_delay_alu instid0(VALU_DEP_3) | instskip(SKIP_2) | instid1(VALU_DEP_3)
	v_div_scale_f32 v37, null, 0x41700000, 0x41700000, v41
	v_div_scale_f32 v40, vcc_lo, v41, 0x41700000, v41
	v_dual_sub_f32 v26, v26, v34 :: v_dual_sub_f32 v15, v15, v34
	v_rcp_f32_e32 v43, v37
	v_dual_sub_f32 v28, v28, v34 :: v_dual_sub_f32 v29, v29, v34
	v_dual_sub_f32 v8, v8, v34 :: v_dual_sub_f32 v9, v9, v34
	;; [unrolled: 1-line block ×3, first 2 shown]
	s_delay_alu instid0(TRANS32_DEP_1) | instskip(SKIP_2) | instid1(VALU_DEP_3)
	v_fma_f32 v38, -v37, v43, 1.0
	v_dual_sub_f32 v16, v16, v34 :: v_dual_sub_f32 v17, v17, v34
	v_dual_sub_f32 v24, v24, v34 :: v_dual_sub_f32 v25, v25, v34
	v_dual_fmac_f32 v43, v38, v43 :: v_dual_mov_b32 v38, v35
	v_dual_sub_f32 v19, v19, v34 :: v_dual_sub_f32 v21, v21, v34
	s_delay_alu instid0(VALU_DEP_2) | instskip(NEXT) | instid1(VALU_DEP_1)
	v_mul_f32_e32 v35, v40, v43
	v_fma_f32 v44, -v37, v35, v40
	s_delay_alu instid0(VALU_DEP_1) | instskip(NEXT) | instid1(VALU_DEP_1)
	v_dual_mov_b32 v39, v1 :: v_dual_fmac_f32 v35, v44, v43
	v_mad_nc_u64_u32 v[38:39], 0xcccccccd, v42, v[38:39]
	s_delay_alu instid0(VALU_DEP_2) | instskip(NEXT) | instid1(VALU_DEP_1)
	v_fma_f32 v37, -v37, v35, v40
	v_div_fmas_f32 v35, v37, v43, v35
	v_sub_f32_e32 v43, v7, v34
	s_delay_alu instid0(VALU_DEP_4) | instskip(NEXT) | instid1(VALU_DEP_3)
	v_dual_mov_b32 v40, v39 :: v_dual_mov_b32 v39, v1
	v_div_fixup_f32 v35, v35, 0x41700000, v41
	v_mov_b32_e32 v41, v1
	s_delay_alu instid0(VALU_DEP_3) | instskip(SKIP_1) | instid1(VALU_DEP_4)
	v_mad_nc_u64_u32 v[36:37], 0xcccccccc, v36, v[38:39]
	v_lshrrev_b32_e32 v38, 5, v0
	v_div_scale_f32 v36, null, v35, v35, 1.0
	s_delay_alu instid0(VALU_DEP_1) | instskip(NEXT) | instid1(VALU_DEP_3)
	v_rcp_f32_e32 v39, v36
	v_mov_b32_e32 v0, v37
	s_delay_alu instid0(TRANS32_DEP_1) | instskip(SKIP_1) | instid1(VALU_DEP_3)
	v_fma_f32 v37, -v36, v39, 1.0
	v_sub_f32_e32 v14, v14, v34
	v_add_nc_u64_e32 v[0:1], v[40:41], v[0:1]
	v_div_scale_f32 v40, vcc_lo, 1.0, v35, 1.0
	s_delay_alu instid0(VALU_DEP_4) | instskip(NEXT) | instid1(VALU_DEP_3)
	v_dual_fmac_f32 v39, v37, v39 :: v_dual_sub_f32 v27, v27, v34
	v_mad_nc_u64_u32 v[0:1], 0xcccccccc, v42, v[0:1]
	s_delay_alu instid0(VALU_DEP_2) | instskip(SKIP_1) | instid1(VALU_DEP_2)
	v_dual_mul_f32 v37, v40, v39 :: v_dual_sub_f32 v42, v6, v34
	v_sub_f32_e32 v20, v20, v34
	v_fma_f32 v41, -v36, v37, v40
	s_delay_alu instid0(VALU_DEP_4) | instskip(NEXT) | instid1(VALU_DEP_2)
	v_alignbit_b32 v0, v1, v0, 4
	v_dual_fmac_f32 v37, v41, v39 :: v_dual_lshrrev_b32 v1, 4, v1
	s_delay_alu instid0(VALU_DEP_2) | instskip(NEXT) | instid1(VALU_DEP_2)
	v_mad_nc_u64_u32 v[6:7], v0, 20, s[2:3]
	v_dual_fma_f32 v0, -v36, v37, v40 :: v_dual_sub_f32 v40, v13, v34
	s_delay_alu instid0(VALU_DEP_1) | instskip(SKIP_3) | instid1(VALU_DEP_4)
	v_div_fmas_f32 v0, v0, v39, v37
	v_cmp_neq_f32_e32 vcc_lo, 0, v35
	v_sub_f32_e32 v39, v5, v34
	v_mad_u32 v7, v1, 20, v7
	v_div_fixup_f32 v0, v0, v35, 1.0
	v_sub_f32_e32 v36, v4, v34
	s_delay_alu instid0(VALU_DEP_2) | instskip(NEXT) | instid1(VALU_DEP_4)
	v_dual_sub_f32 v4, v12, v34 :: v_dual_cndmask_b32 v37, 0, v0
	v_mad_nc_u64_u32 v[0:1], v38, 20, v[6:7]
	s_delay_alu instid0(VALU_DEP_2)
	v_fma_f32 v5, v30, v37, 0.5
	v_fma_f32 v6, v32, v37, 0.5
	;; [unrolled: 1-line block ×5, first 2 shown]
	v_cvt_i32_f32_e32 v2, v5
	v_cvt_i32_f32_e32 v5, v6
	v_fma_f32 v7, v26, v37, 0.5
	v_fma_f32 v12, v28, v37, 0.5
	;; [unrolled: 1-line block ×9, first 2 shown]
	v_cvt_f64_i32_e32 v[2:3], v2
	v_cvt_f64_i32_e32 v[4:5], v5
	v_fma_f32 v30, v31, v37, 0.5
	v_fma_f32 v31, v33, v37, 0.5
	;; [unrolled: 1-line block ×6, first 2 shown]
	v_cvt_i32_f32_e32 v6, v7
	v_cvt_i32_f32_e32 v9, v12
	;; [unrolled: 1-line block ×6, first 2 shown]
	v_fma_f32 v28, v17, v37, 0.5
	v_cvt_f64_i32_e32 v[6:7], v6
	v_cvt_f64_i32_e32 v[8:9], v9
	;; [unrolled: 1-line block ×6, first 2 shown]
	v_fma_f32 v22, v22, v37, 0.5
	v_fma_f32 v23, v23, v37, 0.5
	;; [unrolled: 1-line block ×11, first 2 shown]
	v_min_num_f64_e32 v[2:3], 0x402e0000, v[2:3]
	v_min_num_f64_e32 v[4:5], 0x402e0000, v[4:5]
	v_cvt_i32_f32_e32 v22, v22
	v_cvt_i32_f32_e32 v23, v23
	;; [unrolled: 1-line block ×13, first 2 shown]
	v_min_num_f64_e32 v[6:7], 0x402e0000, v[6:7]
	v_min_num_f64_e32 v[8:9], 0x402e0000, v[8:9]
	;; [unrolled: 1-line block ×6, first 2 shown]
	v_cvt_i32_f32_e32 v47, v19
	v_cvt_i32_f32_e32 v57, v41
	;; [unrolled: 1-line block ×9, first 2 shown]
	v_cvt_f64_i32_e32 v[18:19], v22
	v_cvt_f64_i32_e32 v[20:21], v23
	;; [unrolled: 1-line block ×5, first 2 shown]
	v_cvt_i32_f64_e32 v60, v[2:3]
	v_cvt_f64_i32_e32 v[2:3], v54
	v_cvt_i32_f64_e32 v54, v[4:5]
	v_cvt_f64_i32_e32 v[4:5], v55
	v_cvt_i32_f32_e32 v53, v33
	v_cvt_i32_f32_e32 v59, v36
	v_cvt_f64_i32_e32 v[24:25], v24
	v_cvt_f64_i32_e32 v[36:37], v38
	;; [unrolled: 1-line block ×11, first 2 shown]
	v_cvt_i32_f64_e32 v55, v[6:7]
	v_cvt_f64_i32_e32 v[6:7], v52
	v_cvt_i32_f64_e32 v52, v[8:9]
	v_cvt_f64_i32_e32 v[8:9], v53
	;; [unrolled: 2-line block ×6, first 2 shown]
	v_min_num_f64_e32 v[20:21], 0x402e0000, v[20:21]
	v_min_num_f64_e32 v[22:23], 0x402e0000, v[22:23]
	;; [unrolled: 1-line block ×24, first 2 shown]
	v_cvt_i32_f64_e32 v2, v[2:3]
	v_cvt_i32_f64_e32 v18, v[18:19]
	;; [unrolled: 1-line block ×20, first 2 shown]
	v_lshlrev_b16 v22, 4, v57
	v_cvt_i32_f64_e32 v8, v[10:11]
	v_lshlrev_b16 v23, 4, v58
	v_cvt_i32_f64_e32 v9, v[12:13]
	v_lshlrev_b16 v13, 4, v54
	v_cvt_i32_f64_e32 v10, v[14:15]
	v_lshlrev_b16 v14, 4, v55
	v_cvt_i32_f64_e32 v11, v[16:17]
	v_lshlrev_b16 v15, 4, v52
	v_lshlrev_b16 v17, 4, v56
	;; [unrolled: 1-line block ×16, first 2 shown]
	v_or_b32_e32 v13, v13, v19
	v_or_b32_e32 v2, v3, v2
	;; [unrolled: 1-line block ×4, first 2 shown]
	v_lshlrev_b16 v28, 8, v40
	v_lshlrev_b16 v29, 12, v41
	;; [unrolled: 1-line block ×4, first 2 shown]
	v_or_b32_e32 v7, v15, v7
	v_or_b32_e32 v15, v27, v26
	;; [unrolled: 1-line block ×5, first 2 shown]
	v_bitop3_b16 v4, v13, v4, 0xff bitop3:0xec
	v_or_b32_e32 v6, v14, v6
	v_or_b32_e32 v11, v23, v11
	;; [unrolled: 1-line block ×3, first 2 shown]
	v_bitop3_b16 v9, v9, v17, 0xff bitop3:0xec
	v_or_b32_e32 v12, v12, v18
	v_or_b32_e32 v18, v31, v30
	v_bitop3_b16 v2, v7, v2, 0xff bitop3:0xec
	v_bitop3_b16 v5, v10, v14, 0xff bitop3:0xec
	;; [unrolled: 1-line block ×3, first 2 shown]
	v_or_b32_e32 v8, v16, v8
	v_dual_lshlrev_b32 v9, 16, v9 :: v_dual_bitop2_b32 v16, v29, v28 bitop3:0x54
	v_bitop3_b16 v3, v12, v3, 0xff bitop3:0xec
	s_delay_alu instid0(VALU_DEP_4) | instskip(NEXT) | instid1(VALU_DEP_3)
	v_dual_lshlrev_b32 v7, 16, v10 :: v_dual_lshlrev_b32 v11, 16, v4
	v_bitop3_b16 v8, v8, v16, 0xff bitop3:0xec
	v_bitop3_b16 v6, v6, v18, 0xff bitop3:0xec
	v_and_b32_e32 v5, 0xffff, v5
	v_lshlrev_b32_e32 v2, 16, v2
	v_and_b32_e32 v10, 0xffff, v3
	v_and_b32_e32 v8, 0xffff, v8
	;; [unrolled: 1-line block ×3, first 2 shown]
	v_cvt_pk_f16_f32 v12, v35, v34
	v_or_b32_e32 v5, v5, v7
	s_delay_alu instid0(VALU_DEP_4) | instskip(NEXT) | instid1(VALU_DEP_4)
	v_or_b32_e32 v4, v8, v9
	v_or_b32_e32 v3, v6, v2
	;; [unrolled: 1-line block ×3, first 2 shown]
	s_clause 0x1
	global_store_b32 v[0:1], v12, off
	global_store_b128 v[0:1], v[2:5], off offset:4
.LBB4_2:
	s_endpgm
	.section	.rodata,"a",@progbits
	.p2align	6, 0x0
	.amdhsa_kernel _ZL16k_set_rows_quantIl10block_q4_1Li32ETnPFvPKfPT0_EXadL_ZL23quantize_f32_q4_1_blockS2_PS0_EEEvS2_PKT_S4_llllllllllllll15HIP_vector_typeIjLj3EESC_SC_SC_SC_
		.amdhsa_group_segment_fixed_size 0
		.amdhsa_private_segment_fixed_size 0
		.amdhsa_kernarg_size 456
		.amdhsa_user_sgpr_count 2
		.amdhsa_user_sgpr_dispatch_ptr 0
		.amdhsa_user_sgpr_queue_ptr 0
		.amdhsa_user_sgpr_kernarg_segment_ptr 1
		.amdhsa_user_sgpr_dispatch_id 0
		.amdhsa_user_sgpr_kernarg_preload_length 0
		.amdhsa_user_sgpr_kernarg_preload_offset 0
		.amdhsa_user_sgpr_private_segment_size 0
		.amdhsa_wavefront_size32 1
		.amdhsa_uses_dynamic_stack 0
		.amdhsa_enable_private_segment 0
		.amdhsa_system_sgpr_workgroup_id_x 1
		.amdhsa_system_sgpr_workgroup_id_y 0
		.amdhsa_system_sgpr_workgroup_id_z 0
		.amdhsa_system_sgpr_workgroup_info 0
		.amdhsa_system_vgpr_workitem_id 0
		.amdhsa_next_free_vgpr 61
		.amdhsa_next_free_sgpr 32
		.amdhsa_named_barrier_count 0
		.amdhsa_reserve_vcc 1
		.amdhsa_float_round_mode_32 0
		.amdhsa_float_round_mode_16_64 0
		.amdhsa_float_denorm_mode_32 3
		.amdhsa_float_denorm_mode_16_64 3
		.amdhsa_fp16_overflow 0
		.amdhsa_memory_ordered 1
		.amdhsa_forward_progress 1
		.amdhsa_inst_pref_size 25
		.amdhsa_round_robin_scheduling 0
		.amdhsa_exception_fp_ieee_invalid_op 0
		.amdhsa_exception_fp_denorm_src 0
		.amdhsa_exception_fp_ieee_div_zero 0
		.amdhsa_exception_fp_ieee_overflow 0
		.amdhsa_exception_fp_ieee_underflow 0
		.amdhsa_exception_fp_ieee_inexact 0
		.amdhsa_exception_int_div_zero 0
	.end_amdhsa_kernel
	.section	.text._ZL16k_set_rows_quantIl10block_q4_1Li32ETnPFvPKfPT0_EXadL_ZL23quantize_f32_q4_1_blockS2_PS0_EEEvS2_PKT_S4_llllllllllllll15HIP_vector_typeIjLj3EESC_SC_SC_SC_,"axG",@progbits,_ZL16k_set_rows_quantIl10block_q4_1Li32ETnPFvPKfPT0_EXadL_ZL23quantize_f32_q4_1_blockS2_PS0_EEEvS2_PKT_S4_llllllllllllll15HIP_vector_typeIjLj3EESC_SC_SC_SC_,comdat
.Lfunc_end4:
	.size	_ZL16k_set_rows_quantIl10block_q4_1Li32ETnPFvPKfPT0_EXadL_ZL23quantize_f32_q4_1_blockS2_PS0_EEEvS2_PKT_S4_llllllllllllll15HIP_vector_typeIjLj3EESC_SC_SC_SC_, .Lfunc_end4-_ZL16k_set_rows_quantIl10block_q4_1Li32ETnPFvPKfPT0_EXadL_ZL23quantize_f32_q4_1_blockS2_PS0_EEEvS2_PKT_S4_llllllllllllll15HIP_vector_typeIjLj3EESC_SC_SC_SC_
                                        ; -- End function
	.set _ZL16k_set_rows_quantIl10block_q4_1Li32ETnPFvPKfPT0_EXadL_ZL23quantize_f32_q4_1_blockS2_PS0_EEEvS2_PKT_S4_llllllllllllll15HIP_vector_typeIjLj3EESC_SC_SC_SC_.num_vgpr, 61
	.set _ZL16k_set_rows_quantIl10block_q4_1Li32ETnPFvPKfPT0_EXadL_ZL23quantize_f32_q4_1_blockS2_PS0_EEEvS2_PKT_S4_llllllllllllll15HIP_vector_typeIjLj3EESC_SC_SC_SC_.num_agpr, 0
	.set _ZL16k_set_rows_quantIl10block_q4_1Li32ETnPFvPKfPT0_EXadL_ZL23quantize_f32_q4_1_blockS2_PS0_EEEvS2_PKT_S4_llllllllllllll15HIP_vector_typeIjLj3EESC_SC_SC_SC_.numbered_sgpr, 32
	.set _ZL16k_set_rows_quantIl10block_q4_1Li32ETnPFvPKfPT0_EXadL_ZL23quantize_f32_q4_1_blockS2_PS0_EEEvS2_PKT_S4_llllllllllllll15HIP_vector_typeIjLj3EESC_SC_SC_SC_.num_named_barrier, 0
	.set _ZL16k_set_rows_quantIl10block_q4_1Li32ETnPFvPKfPT0_EXadL_ZL23quantize_f32_q4_1_blockS2_PS0_EEEvS2_PKT_S4_llllllllllllll15HIP_vector_typeIjLj3EESC_SC_SC_SC_.private_seg_size, 0
	.set _ZL16k_set_rows_quantIl10block_q4_1Li32ETnPFvPKfPT0_EXadL_ZL23quantize_f32_q4_1_blockS2_PS0_EEEvS2_PKT_S4_llllllllllllll15HIP_vector_typeIjLj3EESC_SC_SC_SC_.uses_vcc, 1
	.set _ZL16k_set_rows_quantIl10block_q4_1Li32ETnPFvPKfPT0_EXadL_ZL23quantize_f32_q4_1_blockS2_PS0_EEEvS2_PKT_S4_llllllllllllll15HIP_vector_typeIjLj3EESC_SC_SC_SC_.uses_flat_scratch, 0
	.set _ZL16k_set_rows_quantIl10block_q4_1Li32ETnPFvPKfPT0_EXadL_ZL23quantize_f32_q4_1_blockS2_PS0_EEEvS2_PKT_S4_llllllllllllll15HIP_vector_typeIjLj3EESC_SC_SC_SC_.has_dyn_sized_stack, 0
	.set _ZL16k_set_rows_quantIl10block_q4_1Li32ETnPFvPKfPT0_EXadL_ZL23quantize_f32_q4_1_blockS2_PS0_EEEvS2_PKT_S4_llllllllllllll15HIP_vector_typeIjLj3EESC_SC_SC_SC_.has_recursion, 0
	.set _ZL16k_set_rows_quantIl10block_q4_1Li32ETnPFvPKfPT0_EXadL_ZL23quantize_f32_q4_1_blockS2_PS0_EEEvS2_PKT_S4_llllllllllllll15HIP_vector_typeIjLj3EESC_SC_SC_SC_.has_indirect_call, 0
	.section	.AMDGPU.csdata,"",@progbits
; Kernel info:
; codeLenInByte = 3180
; TotalNumSgprs: 34
; NumVgprs: 61
; ScratchSize: 0
; MemoryBound: 0
; FloatMode: 240
; IeeeMode: 1
; LDSByteSize: 0 bytes/workgroup (compile time only)
; SGPRBlocks: 0
; VGPRBlocks: 3
; NumSGPRsForWavesPerEU: 34
; NumVGPRsForWavesPerEU: 61
; NamedBarCnt: 0
; Occupancy: 16
; WaveLimiterHint : 1
; COMPUTE_PGM_RSRC2:SCRATCH_EN: 0
; COMPUTE_PGM_RSRC2:USER_SGPR: 2
; COMPUTE_PGM_RSRC2:TRAP_HANDLER: 0
; COMPUTE_PGM_RSRC2:TGID_X_EN: 1
; COMPUTE_PGM_RSRC2:TGID_Y_EN: 0
; COMPUTE_PGM_RSRC2:TGID_Z_EN: 0
; COMPUTE_PGM_RSRC2:TIDIG_COMP_CNT: 0
	.section	.text._ZL16k_set_rows_quantIl10block_q5_0Li32ETnPFvPKfPT0_EXadL_ZL23quantize_f32_q5_0_blockS2_PS0_EEEvS2_PKT_S4_llllllllllllll15HIP_vector_typeIjLj3EESC_SC_SC_SC_,"axG",@progbits,_ZL16k_set_rows_quantIl10block_q5_0Li32ETnPFvPKfPT0_EXadL_ZL23quantize_f32_q5_0_blockS2_PS0_EEEvS2_PKT_S4_llllllllllllll15HIP_vector_typeIjLj3EESC_SC_SC_SC_,comdat
	.globl	_ZL16k_set_rows_quantIl10block_q5_0Li32ETnPFvPKfPT0_EXadL_ZL23quantize_f32_q5_0_blockS2_PS0_EEEvS2_PKT_S4_llllllllllllll15HIP_vector_typeIjLj3EESC_SC_SC_SC_ ; -- Begin function _ZL16k_set_rows_quantIl10block_q5_0Li32ETnPFvPKfPT0_EXadL_ZL23quantize_f32_q5_0_blockS2_PS0_EEEvS2_PKT_S4_llllllllllllll15HIP_vector_typeIjLj3EESC_SC_SC_SC_
	.p2align	8
	.type	_ZL16k_set_rows_quantIl10block_q5_0Li32ETnPFvPKfPT0_EXadL_ZL23quantize_f32_q5_0_blockS2_PS0_EEEvS2_PKT_S4_llllllllllllll15HIP_vector_typeIjLj3EESC_SC_SC_SC_,@function
_ZL16k_set_rows_quantIl10block_q5_0Li32ETnPFvPKfPT0_EXadL_ZL23quantize_f32_q5_0_blockS2_PS0_EEEvS2_PKT_S4_llllllllllllll15HIP_vector_typeIjLj3EESC_SC_SC_SC_: ; @_ZL16k_set_rows_quantIl10block_q5_0Li32ETnPFvPKfPT0_EXadL_ZL23quantize_f32_q5_0_blockS2_PS0_EEEvS2_PKT_S4_llllllllllllll15HIP_vector_typeIjLj3EESC_SC_SC_SC_
; %bb.0:
	s_clause 0x1
	s_load_b32 s4, s[0:1], 0xd4
	s_load_b64 s[2:3], s[0:1], 0x18
	s_bfe_u32 s5, ttmp6, 0x4000c
	s_and_b32 s6, ttmp6, 15
	s_add_co_i32 s5, s5, 1
	s_getreg_b32 s7, hwreg(HW_REG_IB_STS2, 6, 4)
	s_mul_i32 s5, ttmp9, s5
	v_mov_b32_e32 v1, 0
	s_add_co_i32 s6, s6, s5
	s_wait_kmcnt 0x0
	s_and_b32 s4, s4, 0xffff
	s_cmp_eq_u32 s7, 0
	s_cselect_b32 s5, ttmp9, s6
	s_delay_alu instid0(SALU_CYCLE_1) | instskip(NEXT) | instid1(VALU_DEP_1)
	v_mad_nc_u64_u32 v[2:3], s4, s5, v[0:1]
	v_cmp_gt_i64_e32 vcc_lo, s[2:3], v[2:3]
	s_mov_b32 s3, 0
	s_and_saveexec_b32 s2, vcc_lo
	s_cbranch_execz .LBB5_4
; %bb.1:
	s_load_b256 s[20:27], s[0:1], 0x88
	v_lshlrev_b32_e32 v0, 5, v2
	s_clause 0x1
	s_load_b128 s[28:31], s[0:1], 0xa8
	s_load_b512 s[4:19], s[0:1], 0x40
	v_dual_mov_b32 v33, v1 :: v_dual_mov_b32 v15, v1
	v_dual_mov_b32 v11, v1 :: v_dual_mov_b32 v35, v1
	s_wait_kmcnt 0x0
	v_mul_hi_u32 v2, s20, v0
	s_delay_alu instid0(VALU_DEP_1) | instskip(NEXT) | instid1(VALU_DEP_1)
	v_add_nc_u32_e32 v2, v0, v2
	v_lshrrev_b32_e32 v12, s21, v2
	s_delay_alu instid0(VALU_DEP_1) | instskip(NEXT) | instid1(VALU_DEP_1)
	v_mul_hi_u32 v2, v12, s23
	v_add_nc_u32_e32 v2, v12, v2
	s_delay_alu instid0(VALU_DEP_1) | instskip(NEXT) | instid1(VALU_DEP_1)
	v_lshrrev_b32_e32 v4, s24, v2
	v_mul_hi_u32 v2, v4, s26
	s_delay_alu instid0(VALU_DEP_1) | instskip(NEXT) | instid1(VALU_DEP_1)
	v_add_nc_u32_e32 v2, v4, v2
	v_lshrrev_b32_e32 v10, s27, v2
	v_mul_lo_u32 v3, v4, s25
	s_delay_alu instid0(VALU_DEP_2)
	v_mul_lo_u32 v5, v10, s28
	v_mul_u64_e32 v[8:9], s[8:9], v[10:11]
	v_mul_lo_u32 v11, v12, s22
	s_clause 0x1
	s_load_b64 s[8:9], s[0:1], 0x10
	s_load_b96 s[20:22], s[0:1], 0xb8
	s_delay_alu instid0(VALU_DEP_4) | instskip(NEXT) | instid1(VALU_DEP_4)
	v_sub_nc_u32_e32 v32, v12, v3
	v_sub_nc_u32_e32 v14, v4, v5
	s_delay_alu instid0(VALU_DEP_2) | instskip(NEXT) | instid1(VALU_DEP_4)
	v_mul_u64_e32 v[2:3], s[4:5], v[32:33]
	v_sub_nc_u32_e32 v0, v0, v11
	v_mul_u64_e32 v[36:37], s[10:11], v[32:33]
	s_delay_alu instid0(VALU_DEP_4)
	v_mul_u64_e32 v[6:7], s[6:7], v[14:15]
	s_load_b128 s[4:7], s[0:1], 0x0
	v_mul_hi_u32 v11, v14, s29
	s_wait_xcnt 0x0
	s_load_b64 s[0:1], s[0:1], 0x80
	s_wait_kmcnt 0x0
	v_mul_hi_u32 v15, v10, s20
	s_delay_alu instid0(VALU_DEP_2) | instskip(SKIP_3) | instid1(VALU_DEP_4)
	v_add_nc_u32_e32 v11, v14, v11
	v_lshlrev_b64_e32 v[12:13], 2, v[0:1]
	v_lshrrev_b32_e32 v0, 5, v0
	v_lshlrev_b64_e32 v[8:9], 2, v[8:9]
	v_lshrrev_b32_e32 v11, s30, v11
	v_add_nc_u32_e32 v15, v10, v15
	s_delay_alu instid0(VALU_DEP_2) | instskip(SKIP_3) | instid1(VALU_DEP_3)
	v_mul_lo_u32 v11, v11, s31
	v_lshlrev_b64_e32 v[4:5], 2, v[2:3]
	v_lshl_add_u64 v[36:37], v[36:37], 3, s[6:7]
	v_lshlrev_b64_e32 v[6:7], 2, v[6:7]
	v_add_nc_u64_e32 v[2:3], s[4:5], v[4:5]
	s_delay_alu instid0(VALU_DEP_1) | instskip(SKIP_1) | instid1(VALU_DEP_2)
	v_add_nc_u64_e32 v[2:3], v[2:3], v[6:7]
	v_add_nc_u64_e32 v[6:7], v[8:9], v[6:7]
	;; [unrolled: 1-line block ×3, first 2 shown]
	s_delay_alu instid0(VALU_DEP_2) | instskip(NEXT) | instid1(VALU_DEP_2)
	v_add_nc_u64_e32 v[4:5], v[6:7], v[4:5]
	v_add_nc_u64_e32 v[2:3], v[2:3], v[12:13]
	s_clause 0x3
	global_load_b128 v[16:19], v[2:3], off
	global_load_b128 v[20:23], v[2:3], off offset:16
	global_load_b128 v[24:27], v[2:3], off offset:32
	;; [unrolled: 1-line block ×3, first 2 shown]
	v_sub_nc_u32_e32 v34, v14, v11
	v_add_nc_u64_e32 v[4:5], v[4:5], v[12:13]
	s_delay_alu instid0(VALU_DEP_1) | instskip(SKIP_3) | instid1(VALU_DEP_1)
	v_add_nc_u64_e32 v[4:5], s[4:5], v[4:5]
	s_wait_loadcnt 0x3
	v_cmp_lg_f32_e32 vcc_lo, 0, v16
	v_dual_lshrrev_b32 v15, s21, v15 :: v_dual_cndmask_b32 v11, 0, v16, vcc_lo
	v_mul_lo_u32 v15, v15, s22
	s_delay_alu instid0(VALU_DEP_1) | instskip(SKIP_1) | instid1(VALU_DEP_1)
	v_sub_nc_u32_e32 v32, v10, v15
	v_cndmask_b32_e64 v15, 0, |v16|, vcc_lo
	v_cmp_lt_f32_e64 vcc_lo, v15, |v17|
	s_delay_alu instid0(VALU_DEP_1) | instskip(SKIP_2) | instid1(VALU_DEP_3)
	v_cndmask_b32_e64 v15, v15, |v17|, vcc_lo
	v_cndmask_b32_e32 v11, v11, v17, vcc_lo
	v_mul_u64_e32 v[38:39], s[12:13], v[34:35]
	v_cmp_lt_f32_e64 vcc_lo, v15, |v18|
	s_delay_alu instid0(VALU_DEP_3) | instskip(SKIP_3) | instid1(VALU_DEP_1)
	v_cndmask_b32_e32 v11, v11, v18, vcc_lo
	v_mul_u64_e32 v[40:41], s[14:15], v[32:33]
	global_load_b128 v[32:35], v[2:3], off offset:64
	v_cndmask_b32_e64 v15, v15, |v18|, vcc_lo
	v_cmp_lt_f32_e64 vcc_lo, v15, |v19|
	s_delay_alu instid0(VALU_DEP_1) | instskip(SKIP_1) | instid1(VALU_DEP_1)
	v_cndmask_b32_e64 v15, v15, |v19|, vcc_lo
	v_lshl_add_u64 v[36:37], v[38:39], 3, v[36:37]
	v_lshl_add_u64 v[48:49], v[40:41], 3, v[36:37]
	global_load_b64 v[50:51], v[48:49], off
	s_clause 0x2
	global_load_b128 v[36:39], v[2:3], off offset:80
	global_load_b128 v[40:43], v[2:3], off offset:96
	;; [unrolled: 1-line block ×3, first 2 shown]
	v_cndmask_b32_e32 v11, v11, v19, vcc_lo
	s_wait_loadcnt 0x7
	v_cmp_lt_f32_e64 vcc_lo, v15, |v20|
	s_delay_alu instid0(VALU_DEP_1) | instskip(NEXT) | instid1(VALU_DEP_3)
	v_cndmask_b32_e64 v15, v15, |v20|, vcc_lo
	v_cndmask_b32_e32 v11, v11, v20, vcc_lo
	s_delay_alu instid0(VALU_DEP_2) | instskip(NEXT) | instid1(VALU_DEP_1)
	v_cmp_lt_f32_e64 vcc_lo, v15, |v21|
	v_cndmask_b32_e64 v15, v15, |v21|, vcc_lo
	s_delay_alu instid0(VALU_DEP_3) | instskip(NEXT) | instid1(VALU_DEP_2)
	v_cndmask_b32_e32 v11, v11, v21, vcc_lo
	v_cmp_lt_f32_e64 vcc_lo, v15, |v22|
	s_delay_alu instid0(VALU_DEP_1) | instskip(NEXT) | instid1(VALU_DEP_3)
	v_cndmask_b32_e64 v15, v15, |v22|, vcc_lo
	v_cndmask_b32_e32 v11, v11, v22, vcc_lo
	s_delay_alu instid0(VALU_DEP_2) | instskip(NEXT) | instid1(VALU_DEP_1)
	v_cmp_lt_f32_e64 vcc_lo, v15, |v23|
	v_cndmask_b32_e64 v15, v15, |v23|, vcc_lo
	s_delay_alu instid0(VALU_DEP_3) | instskip(SKIP_1) | instid1(VALU_DEP_2)
	v_cndmask_b32_e32 v11, v11, v23, vcc_lo
	s_wait_loadcnt 0x6
	v_cmp_lt_f32_e64 vcc_lo, v15, |v24|
	s_delay_alu instid0(VALU_DEP_1) | instskip(NEXT) | instid1(VALU_DEP_3)
	v_cndmask_b32_e64 v15, v15, |v24|, vcc_lo
	v_cndmask_b32_e32 v11, v11, v24, vcc_lo
	s_delay_alu instid0(VALU_DEP_2) | instskip(NEXT) | instid1(VALU_DEP_1)
	v_cmp_lt_f32_e64 vcc_lo, v15, |v25|
	v_cndmask_b32_e64 v15, v15, |v25|, vcc_lo
	s_delay_alu instid0(VALU_DEP_3) | instskip(NEXT) | instid1(VALU_DEP_2)
	v_cndmask_b32_e32 v11, v11, v25, vcc_lo
	v_cmp_lt_f32_e64 vcc_lo, v15, |v26|
	s_delay_alu instid0(VALU_DEP_1) | instskip(NEXT) | instid1(VALU_DEP_3)
	v_cndmask_b32_e64 v15, v15, |v26|, vcc_lo
	v_cndmask_b32_e32 v11, v11, v26, vcc_lo
	s_delay_alu instid0(VALU_DEP_2) | instskip(NEXT) | instid1(VALU_DEP_1)
	v_cmp_lt_f32_e64 vcc_lo, v15, |v27|
	v_cndmask_b32_e64 v15, v15, |v27|, vcc_lo
	s_delay_alu instid0(VALU_DEP_3) | instskip(SKIP_1) | instid1(VALU_DEP_2)
	;; [unrolled: 19-line block ×3, first 2 shown]
	v_cndmask_b32_e32 v11, v11, v31, vcc_lo
	s_wait_loadcnt 0x4
	v_cmp_lt_f32_e64 vcc_lo, v15, |v32|
	s_delay_alu instid0(VALU_DEP_1) | instskip(NEXT) | instid1(VALU_DEP_3)
	v_cndmask_b32_e64 v15, v15, |v32|, vcc_lo
	v_cndmask_b32_e32 v11, v11, v32, vcc_lo
	s_delay_alu instid0(VALU_DEP_2) | instskip(NEXT) | instid1(VALU_DEP_1)
	v_cmp_lt_f32_e64 vcc_lo, v15, |v33|
	v_cndmask_b32_e64 v15, v15, |v33|, vcc_lo
	s_delay_alu instid0(VALU_DEP_3) | instskip(NEXT) | instid1(VALU_DEP_2)
	v_cndmask_b32_e32 v11, v11, v33, vcc_lo
	v_cmp_lt_f32_e64 vcc_lo, v15, |v34|
	s_delay_alu instid0(VALU_DEP_1) | instskip(NEXT) | instid1(VALU_DEP_3)
	v_cndmask_b32_e64 v15, v15, |v34|, vcc_lo
	v_cndmask_b32_e32 v11, v11, v34, vcc_lo
	s_delay_alu instid0(VALU_DEP_2) | instskip(SKIP_2) | instid1(VALU_DEP_2)
	v_cmp_lt_f32_e64 vcc_lo, v15, |v35|
	s_wait_loadcnt 0x3
	v_mul_u64_e32 v[16:17], s[16:17], v[50:51]
	v_cndmask_b32_e64 v15, v15, |v35|, vcc_lo
	v_cndmask_b32_e32 v11, v11, v35, vcc_lo
	s_wait_loadcnt 0x2
	s_delay_alu instid0(VALU_DEP_2) | instskip(NEXT) | instid1(VALU_DEP_1)
	v_cmp_lt_f32_e64 vcc_lo, v15, |v36|
	v_cndmask_b32_e64 v15, v15, |v36|, vcc_lo
	s_delay_alu instid0(VALU_DEP_3) | instskip(NEXT) | instid1(VALU_DEP_2)
	v_cndmask_b32_e32 v11, v11, v36, vcc_lo
	v_cmp_lt_f32_e64 vcc_lo, v15, |v37|
	s_delay_alu instid0(VALU_DEP_1) | instskip(NEXT) | instid1(VALU_DEP_3)
	v_cndmask_b32_e64 v15, v15, |v37|, vcc_lo
	v_cndmask_b32_e32 v11, v11, v37, vcc_lo
	s_delay_alu instid0(VALU_DEP_2) | instskip(SKIP_1) | instid1(VALU_DEP_2)
	v_cmp_lt_f32_e64 vcc_lo, v15, |v38|
	v_mad_nc_u64_u32 v[16:17], s0, v10, v[16:17]
	v_cndmask_b32_e64 v15, v15, |v38|, vcc_lo
	s_delay_alu instid0(VALU_DEP_4) | instskip(NEXT) | instid1(VALU_DEP_2)
	v_cndmask_b32_e32 v11, v11, v38, vcc_lo
	v_cmp_lt_f32_e64 vcc_lo, v15, |v39|
	s_delay_alu instid0(VALU_DEP_4) | instskip(NEXT) | instid1(VALU_DEP_2)
	v_mad_u32 v17, s1, v10, v17
	v_cndmask_b32_e64 v15, v15, |v39|, vcc_lo
	s_delay_alu instid0(VALU_DEP_4) | instskip(SKIP_2) | instid1(VALU_DEP_2)
	v_cndmask_b32_e32 v18, v11, v39, vcc_lo
	s_mov_b64 s[0:1], 0xba2e8ba3
	s_wait_loadcnt 0x1
	v_cmp_lt_f32_e64 vcc_lo, v15, |v40|
	s_delay_alu instid0(VALU_DEP_4) | instskip(NEXT) | instid1(VALU_DEP_2)
	v_mad_nc_u64_u32 v[10:11], s18, v14, v[16:17]
	v_cndmask_b32_e64 v15, v15, |v40|, vcc_lo
	s_delay_alu instid0(VALU_DEP_2) | instskip(SKIP_1) | instid1(VALU_DEP_3)
	v_mad_u32 v20, s19, v14, v11
	v_dual_mov_b32 v11, v1 :: v_dual_cndmask_b32 v16, v18, v40
	v_cmp_lt_f32_e64 vcc_lo, v15, |v41|
	s_delay_alu instid0(VALU_DEP_1) | instskip(NEXT) | instid1(VALU_DEP_3)
	v_cndmask_b32_e64 v17, v15, |v41|, vcc_lo
	v_mul_u64_e32 v[14:15], s[0:1], v[10:11]
	s_delay_alu instid0(VALU_DEP_4) | instskip(SKIP_1) | instid1(VALU_DEP_3)
	v_cndmask_b32_e32 v16, v16, v41, vcc_lo
	s_mov_b32 s0, 0xbd800000
	v_cmp_lt_f32_e64 vcc_lo, v17, |v42|
	s_delay_alu instid0(VALU_DEP_1) | instskip(NEXT) | instid1(VALU_DEP_3)
	v_cndmask_b32_e64 v14, v17, |v42|, vcc_lo
	v_dual_cndmask_b32 v11, v16, v42, vcc_lo :: v_dual_mov_b32 v17, v1
	s_delay_alu instid0(VALU_DEP_2) | instskip(NEXT) | instid1(VALU_DEP_1)
	v_cmp_lt_f32_e64 vcc_lo, v14, |v43|
	v_cndmask_b32_e64 v14, v14, |v43|, vcc_lo
	v_mov_b32_e32 v16, v15
	s_delay_alu instid0(VALU_DEP_4) | instskip(SKIP_1) | instid1(VALU_DEP_3)
	v_cndmask_b32_e32 v11, v11, v43, vcc_lo
	s_wait_loadcnt 0x0
	v_cmp_lt_f32_e64 vcc_lo, v14, |v44|
	s_delay_alu instid0(VALU_DEP_1) | instskip(NEXT) | instid1(VALU_DEP_3)
	v_cndmask_b32_e64 v14, v14, |v44|, vcc_lo
	v_cndmask_b32_e32 v11, v11, v44, vcc_lo
	s_delay_alu instid0(VALU_DEP_2) | instskip(NEXT) | instid1(VALU_DEP_1)
	v_cmp_lt_f32_e64 vcc_lo, v14, |v45|
	v_cndmask_b32_e64 v18, v14, |v45|, vcc_lo
	v_mad_nc_u64_u32 v[14:15], 0xba2e8ba3, v20, v[16:17]
	s_delay_alu instid0(VALU_DEP_4) | instskip(NEXT) | instid1(VALU_DEP_3)
	v_cndmask_b32_e32 v11, v11, v45, vcc_lo
	v_cmp_lt_f32_e64 vcc_lo, v18, |v46|
	s_delay_alu instid0(VALU_DEP_1) | instskip(NEXT) | instid1(VALU_DEP_3)
	v_cndmask_b32_e64 v17, v18, |v46|, vcc_lo
	v_cndmask_b32_e32 v11, v11, v46, vcc_lo
	v_dual_mov_b32 v16, v15 :: v_dual_mov_b32 v15, v1
	v_mul_u64_e32 v[18:19], 22, v[0:1]
	s_delay_alu instid0(VALU_DEP_4) | instskip(NEXT) | instid1(VALU_DEP_1)
	v_cmp_lt_f32_e64 vcc_lo, v17, |v47|
	v_dual_mov_b32 v17, v1 :: v_dual_cndmask_b32 v21, v11, v47, vcc_lo
	s_delay_alu instid0(VALU_DEP_4) | instskip(NEXT) | instid1(VALU_DEP_2)
	v_mad_nc_u64_u32 v[10:11], 0x2e8ba2e8, v10, v[14:15]
	v_mul_f32_e32 v22, 0xbd800000, v21
	s_delay_alu instid0(VALU_DEP_1) | instskip(NEXT) | instid1(VALU_DEP_3)
	v_div_scale_f32 v23, null, v22, v22, 1.0
	v_mov_b32_e32 v14, v11
	s_delay_alu instid0(VALU_DEP_2) | instskip(NEXT) | instid1(VALU_DEP_1)
	v_rcp_f32_e32 v0, v23
	v_add_nc_u64_e32 v[10:11], v[16:17], v[14:15]
	s_delay_alu instid0(TRANS32_DEP_1) | instskip(NEXT) | instid1(VALU_DEP_2)
	v_fma_f32 v14, -v23, v0, 1.0
	v_mad_nc_u64_u32 v[8:9], 0x2e8ba2e8, v20, v[10:11]
	v_div_scale_f32 v10, vcc_lo, 1.0, v22, 1.0
	s_delay_alu instid0(VALU_DEP_3) | instskip(NEXT) | instid1(VALU_DEP_1)
	v_fmac_f32_e32 v0, v14, v0
	v_mul_f32_e32 v11, v10, v0
	s_delay_alu instid0(VALU_DEP_4) | instskip(NEXT) | instid1(VALU_DEP_2)
	v_alignbit_b32 v6, v9, v8, 2
	v_dual_lshrrev_b32 v7, 2, v9 :: v_dual_fma_f32 v14, -v23, v11, v10
	s_delay_alu instid0(VALU_DEP_2) | instskip(NEXT) | instid1(VALU_DEP_2)
	v_mad_nc_u64_u32 v[8:9], v6, 22, s[8:9]
	v_mul_lo_u32 v7, v7, 22
	s_delay_alu instid0(VALU_DEP_3) | instskip(SKIP_1) | instid1(VALU_DEP_3)
	v_fmac_f32_e32 v11, v14, v0
	v_mad_nc_u64_u32 v[12:13], v6, 22, v[18:19]
	v_add_nc_u32_e32 v9, v7, v9
	s_delay_alu instid0(VALU_DEP_3) | instskip(NEXT) | instid1(VALU_DEP_3)
	v_fma_f32 v6, -v23, v11, v10
	v_dual_mov_b32 v10, 0 :: v_dual_add_nc_u32 v13, v7, v13
	s_delay_alu instid0(VALU_DEP_2)
	v_div_fmas_f32 v0, v6, v0, v11
	v_cmp_neq_f32_e32 vcc_lo, 0, v22
	v_mov_b32_e32 v11, 0
	v_add_nc_u64_e32 v[6:7], 64, v[4:5]
	v_add_nc_u64_e32 v[4:5], v[8:9], v[18:19]
	v_div_fixup_f32 v0, v0, v22, 1.0
	v_add_nc_u64_e32 v[8:9], s[8:9], v[12:13]
	v_fma_mixlo_f16 v12, v21, s0, 0
	s_mov_b64 s[0:1], 0
	s_delay_alu instid0(VALU_DEP_3)
	v_cndmask_b32_e32 v0, 0, v0, vcc_lo
	global_store_b16 v[4:5], v12, off
.LBB5_2:                                ; =>This Inner Loop Header: Depth=1
	s_clause 0x1
	global_load_b64 v[12:13], v[6:7], off offset:-64
	global_load_b32 v16, v[6:7], off
	s_or_b32 s2, s0, 17
	v_and_b32_e32 v11, 0xff0000, v11
	v_lshl_add_u64 v[14:15], s[2:3], 2, v[2:3]
	v_and_b32_e32 v1, 0xffff, v1
	s_add_co_i32 s4, s0, 16
	s_add_co_i32 s5, s0, 1
	s_wait_xcnt 0x0
	v_add_nc_u64_e32 v[6:7], 8, v[6:7]
	global_load_b32 v14, v[14:15], off
	v_or3_b32 v1, v11, v10, v1
	s_wait_loadcnt 0x2
	v_dual_fmaak_f32 v12, v0, v12, 0x41840000 :: v_dual_fmaak_f32 v13, v0, v13, 0x41840000
	s_wait_loadcnt 0x1
	s_wait_xcnt 0x0
	v_fmaak_f32 v15, v0, v16, 0x41840000
	s_delay_alu instid0(VALU_DEP_2) | instskip(SKIP_3) | instid1(VALU_DEP_3)
	v_cvt_i32_f32_e32 v12, v12
	v_cvt_i32_f32_e32 v16, v13
	s_wait_loadcnt 0x0
	v_fmaak_f32 v17, v0, v14, 0x41840000
	v_cvt_f64_i32_e32 v[12:13], v12
	s_delay_alu instid0(VALU_DEP_2) | instskip(SKIP_1) | instid1(VALU_DEP_2)
	v_cvt_i32_f32_e32 v18, v17
	v_cvt_f64_i32_e32 v[16:17], v16
	v_cvt_f64_i32_e32 v[18:19], v18
	s_delay_alu instid0(VALU_DEP_4) | instskip(NEXT) | instid1(VALU_DEP_3)
	v_min_num_f64_e32 v[12:13], 0x403f0000, v[12:13]
	v_min_num_f64_e32 v[16:17], 0x403f0000, v[16:17]
	s_delay_alu instid0(VALU_DEP_3) | instskip(NEXT) | instid1(VALU_DEP_3)
	v_min_num_f64_e32 v[18:19], 0x403f0000, v[18:19]
	v_cvt_i32_f64_e32 v20, v[12:13]
	v_add_nc_u64_e32 v[12:13], s[0:1], v[8:9]
	s_delay_alu instid0(VALU_DEP_2) | instskip(NEXT) | instid1(VALU_DEP_1)
	v_lshrrev_b16 v10, 4, v20
	v_and_b32_e32 v10, 1, v10
	s_delay_alu instid0(VALU_DEP_1) | instskip(NEXT) | instid1(VALU_DEP_1)
	v_and_b32_e32 v10, 0xffff, v10
	v_lshlrev_b32_e32 v10, s0, v10
	v_cvt_i32_f32_e32 v15, v15
	s_add_nc_u64 s[0:1], s[0:1], 2
	s_delay_alu instid0(SALU_CYCLE_1) | instskip(NEXT) | instid1(VALU_DEP_1)
	s_cmp_lg_u32 s0, 16
	v_cvt_f64_i32_e32 v[14:15], v15
	s_delay_alu instid0(VALU_DEP_1) | instskip(NEXT) | instid1(VALU_DEP_1)
	v_min_num_f64_e32 v[14:15], 0x403f0000, v[14:15]
	v_cvt_i32_f64_e32 v14, v[14:15]
	v_cvt_i32_f64_e32 v15, v[16:17]
	;; [unrolled: 1-line block ×3, first 2 shown]
	s_delay_alu instid0(VALU_DEP_3) | instskip(SKIP_1) | instid1(VALU_DEP_3)
	v_lshrrev_b16 v11, 4, v14
	v_lshlrev_b16 v14, 4, v14
	v_lshrrev_b16 v18, 4, v16
	v_lshlrev_b16 v16, 12, v16
	s_delay_alu instid0(VALU_DEP_4) | instskip(NEXT) | instid1(VALU_DEP_3)
	v_and_b32_e32 v11, 1, v11
	v_and_b32_e32 v18, 1, v18
	s_delay_alu instid0(VALU_DEP_2) | instskip(NEXT) | instid1(VALU_DEP_2)
	v_and_b32_e32 v11, 0xffff, v11
	v_and_b32_e32 v18, 0xffff, v18
	;; [unrolled: 1-line block ×3, first 2 shown]
	v_lshrrev_b16 v15, 4, v15
	s_delay_alu instid0(VALU_DEP_4) | instskip(NEXT) | instid1(VALU_DEP_2)
	v_lshlrev_b32_e32 v11, s4, v11
	v_and_b32_e32 v15, 1, v15
	s_delay_alu instid0(VALU_DEP_2) | instskip(SKIP_4) | instid1(VALU_DEP_2)
	v_or3_b32 v1, v10, v1, v11
	v_bitop3_b16 v10, v14, v20, 15 bitop3:0xf8
	v_lshlrev_b32_e32 v14, s2, v18
	v_lshlrev_b16 v17, 8, v17
	v_and_b32_e32 v15, 0xffff, v15
	v_or_b32_e32 v11, v16, v17
	s_delay_alu instid0(VALU_DEP_2) | instskip(NEXT) | instid1(VALU_DEP_2)
	v_lshl_or_b32 v1, v15, s5, v1
	v_bitop3_b16 v15, v10, v11, 0xff bitop3:0xec
	s_delay_alu instid0(VALU_DEP_2)
	v_or_b32_e32 v11, v1, v14
	v_bitop3_b32 v10, v1, 0xff000000, v14 bitop3:0xc8
	global_store_b16 v[12:13], v15, off offset:6
	s_cbranch_scc1 .LBB5_2
; %bb.3:
	v_bfi_b32 v0, 0xffff, v1, v11
	global_store_b32 v[4:5], v0, off offset:2
.LBB5_4:
	s_endpgm
	.section	.rodata,"a",@progbits
	.p2align	6, 0x0
	.amdhsa_kernel _ZL16k_set_rows_quantIl10block_q5_0Li32ETnPFvPKfPT0_EXadL_ZL23quantize_f32_q5_0_blockS2_PS0_EEEvS2_PKT_S4_llllllllllllll15HIP_vector_typeIjLj3EESC_SC_SC_SC_
		.amdhsa_group_segment_fixed_size 0
		.amdhsa_private_segment_fixed_size 0
		.amdhsa_kernarg_size 456
		.amdhsa_user_sgpr_count 2
		.amdhsa_user_sgpr_dispatch_ptr 0
		.amdhsa_user_sgpr_queue_ptr 0
		.amdhsa_user_sgpr_kernarg_segment_ptr 1
		.amdhsa_user_sgpr_dispatch_id 0
		.amdhsa_user_sgpr_kernarg_preload_length 0
		.amdhsa_user_sgpr_kernarg_preload_offset 0
		.amdhsa_user_sgpr_private_segment_size 0
		.amdhsa_wavefront_size32 1
		.amdhsa_uses_dynamic_stack 0
		.amdhsa_enable_private_segment 0
		.amdhsa_system_sgpr_workgroup_id_x 1
		.amdhsa_system_sgpr_workgroup_id_y 0
		.amdhsa_system_sgpr_workgroup_id_z 0
		.amdhsa_system_sgpr_workgroup_info 0
		.amdhsa_system_vgpr_workitem_id 0
		.amdhsa_next_free_vgpr 52
		.amdhsa_next_free_sgpr 32
		.amdhsa_named_barrier_count 0
		.amdhsa_reserve_vcc 1
		.amdhsa_float_round_mode_32 0
		.amdhsa_float_round_mode_16_64 0
		.amdhsa_float_denorm_mode_32 3
		.amdhsa_float_denorm_mode_16_64 3
		.amdhsa_fp16_overflow 0
		.amdhsa_memory_ordered 1
		.amdhsa_forward_progress 1
		.amdhsa_inst_pref_size 19
		.amdhsa_round_robin_scheduling 0
		.amdhsa_exception_fp_ieee_invalid_op 0
		.amdhsa_exception_fp_denorm_src 0
		.amdhsa_exception_fp_ieee_div_zero 0
		.amdhsa_exception_fp_ieee_overflow 0
		.amdhsa_exception_fp_ieee_underflow 0
		.amdhsa_exception_fp_ieee_inexact 0
		.amdhsa_exception_int_div_zero 0
	.end_amdhsa_kernel
	.section	.text._ZL16k_set_rows_quantIl10block_q5_0Li32ETnPFvPKfPT0_EXadL_ZL23quantize_f32_q5_0_blockS2_PS0_EEEvS2_PKT_S4_llllllllllllll15HIP_vector_typeIjLj3EESC_SC_SC_SC_,"axG",@progbits,_ZL16k_set_rows_quantIl10block_q5_0Li32ETnPFvPKfPT0_EXadL_ZL23quantize_f32_q5_0_blockS2_PS0_EEEvS2_PKT_S4_llllllllllllll15HIP_vector_typeIjLj3EESC_SC_SC_SC_,comdat
.Lfunc_end5:
	.size	_ZL16k_set_rows_quantIl10block_q5_0Li32ETnPFvPKfPT0_EXadL_ZL23quantize_f32_q5_0_blockS2_PS0_EEEvS2_PKT_S4_llllllllllllll15HIP_vector_typeIjLj3EESC_SC_SC_SC_, .Lfunc_end5-_ZL16k_set_rows_quantIl10block_q5_0Li32ETnPFvPKfPT0_EXadL_ZL23quantize_f32_q5_0_blockS2_PS0_EEEvS2_PKT_S4_llllllllllllll15HIP_vector_typeIjLj3EESC_SC_SC_SC_
                                        ; -- End function
	.set _ZL16k_set_rows_quantIl10block_q5_0Li32ETnPFvPKfPT0_EXadL_ZL23quantize_f32_q5_0_blockS2_PS0_EEEvS2_PKT_S4_llllllllllllll15HIP_vector_typeIjLj3EESC_SC_SC_SC_.num_vgpr, 52
	.set _ZL16k_set_rows_quantIl10block_q5_0Li32ETnPFvPKfPT0_EXadL_ZL23quantize_f32_q5_0_blockS2_PS0_EEEvS2_PKT_S4_llllllllllllll15HIP_vector_typeIjLj3EESC_SC_SC_SC_.num_agpr, 0
	.set _ZL16k_set_rows_quantIl10block_q5_0Li32ETnPFvPKfPT0_EXadL_ZL23quantize_f32_q5_0_blockS2_PS0_EEEvS2_PKT_S4_llllllllllllll15HIP_vector_typeIjLj3EESC_SC_SC_SC_.numbered_sgpr, 32
	.set _ZL16k_set_rows_quantIl10block_q5_0Li32ETnPFvPKfPT0_EXadL_ZL23quantize_f32_q5_0_blockS2_PS0_EEEvS2_PKT_S4_llllllllllllll15HIP_vector_typeIjLj3EESC_SC_SC_SC_.num_named_barrier, 0
	.set _ZL16k_set_rows_quantIl10block_q5_0Li32ETnPFvPKfPT0_EXadL_ZL23quantize_f32_q5_0_blockS2_PS0_EEEvS2_PKT_S4_llllllllllllll15HIP_vector_typeIjLj3EESC_SC_SC_SC_.private_seg_size, 0
	.set _ZL16k_set_rows_quantIl10block_q5_0Li32ETnPFvPKfPT0_EXadL_ZL23quantize_f32_q5_0_blockS2_PS0_EEEvS2_PKT_S4_llllllllllllll15HIP_vector_typeIjLj3EESC_SC_SC_SC_.uses_vcc, 1
	.set _ZL16k_set_rows_quantIl10block_q5_0Li32ETnPFvPKfPT0_EXadL_ZL23quantize_f32_q5_0_blockS2_PS0_EEEvS2_PKT_S4_llllllllllllll15HIP_vector_typeIjLj3EESC_SC_SC_SC_.uses_flat_scratch, 0
	.set _ZL16k_set_rows_quantIl10block_q5_0Li32ETnPFvPKfPT0_EXadL_ZL23quantize_f32_q5_0_blockS2_PS0_EEEvS2_PKT_S4_llllllllllllll15HIP_vector_typeIjLj3EESC_SC_SC_SC_.has_dyn_sized_stack, 0
	.set _ZL16k_set_rows_quantIl10block_q5_0Li32ETnPFvPKfPT0_EXadL_ZL23quantize_f32_q5_0_blockS2_PS0_EEEvS2_PKT_S4_llllllllllllll15HIP_vector_typeIjLj3EESC_SC_SC_SC_.has_recursion, 0
	.set _ZL16k_set_rows_quantIl10block_q5_0Li32ETnPFvPKfPT0_EXadL_ZL23quantize_f32_q5_0_blockS2_PS0_EEEvS2_PKT_S4_llllllllllllll15HIP_vector_typeIjLj3EESC_SC_SC_SC_.has_indirect_call, 0
	.section	.AMDGPU.csdata,"",@progbits
; Kernel info:
; codeLenInByte = 2328
; TotalNumSgprs: 34
; NumVgprs: 52
; ScratchSize: 0
; MemoryBound: 0
; FloatMode: 240
; IeeeMode: 1
; LDSByteSize: 0 bytes/workgroup (compile time only)
; SGPRBlocks: 0
; VGPRBlocks: 3
; NumSGPRsForWavesPerEU: 34
; NumVGPRsForWavesPerEU: 52
; NamedBarCnt: 0
; Occupancy: 16
; WaveLimiterHint : 1
; COMPUTE_PGM_RSRC2:SCRATCH_EN: 0
; COMPUTE_PGM_RSRC2:USER_SGPR: 2
; COMPUTE_PGM_RSRC2:TRAP_HANDLER: 0
; COMPUTE_PGM_RSRC2:TGID_X_EN: 1
; COMPUTE_PGM_RSRC2:TGID_Y_EN: 0
; COMPUTE_PGM_RSRC2:TGID_Z_EN: 0
; COMPUTE_PGM_RSRC2:TIDIG_COMP_CNT: 0
	.section	.text._ZL16k_set_rows_quantIl10block_q5_1Li32ETnPFvPKfPT0_EXadL_ZL23quantize_f32_q5_1_blockS2_PS0_EEEvS2_PKT_S4_llllllllllllll15HIP_vector_typeIjLj3EESC_SC_SC_SC_,"axG",@progbits,_ZL16k_set_rows_quantIl10block_q5_1Li32ETnPFvPKfPT0_EXadL_ZL23quantize_f32_q5_1_blockS2_PS0_EEEvS2_PKT_S4_llllllllllllll15HIP_vector_typeIjLj3EESC_SC_SC_SC_,comdat
	.globl	_ZL16k_set_rows_quantIl10block_q5_1Li32ETnPFvPKfPT0_EXadL_ZL23quantize_f32_q5_1_blockS2_PS0_EEEvS2_PKT_S4_llllllllllllll15HIP_vector_typeIjLj3EESC_SC_SC_SC_ ; -- Begin function _ZL16k_set_rows_quantIl10block_q5_1Li32ETnPFvPKfPT0_EXadL_ZL23quantize_f32_q5_1_blockS2_PS0_EEEvS2_PKT_S4_llllllllllllll15HIP_vector_typeIjLj3EESC_SC_SC_SC_
	.p2align	8
	.type	_ZL16k_set_rows_quantIl10block_q5_1Li32ETnPFvPKfPT0_EXadL_ZL23quantize_f32_q5_1_blockS2_PS0_EEEvS2_PKT_S4_llllllllllllll15HIP_vector_typeIjLj3EESC_SC_SC_SC_,@function
_ZL16k_set_rows_quantIl10block_q5_1Li32ETnPFvPKfPT0_EXadL_ZL23quantize_f32_q5_1_blockS2_PS0_EEEvS2_PKT_S4_llllllllllllll15HIP_vector_typeIjLj3EESC_SC_SC_SC_: ; @_ZL16k_set_rows_quantIl10block_q5_1Li32ETnPFvPKfPT0_EXadL_ZL23quantize_f32_q5_1_blockS2_PS0_EEEvS2_PKT_S4_llllllllllllll15HIP_vector_typeIjLj3EESC_SC_SC_SC_
; %bb.0:
	s_clause 0x1
	s_load_b32 s4, s[0:1], 0xd4
	s_load_b64 s[2:3], s[0:1], 0x18
	s_bfe_u32 s5, ttmp6, 0x4000c
	s_and_b32 s6, ttmp6, 15
	s_add_co_i32 s5, s5, 1
	s_getreg_b32 s7, hwreg(HW_REG_IB_STS2, 6, 4)
	s_mul_i32 s5, ttmp9, s5
	v_mov_b32_e32 v1, 0
	s_add_co_i32 s6, s6, s5
	s_wait_kmcnt 0x0
	s_and_b32 s4, s4, 0xffff
	s_cmp_eq_u32 s7, 0
	s_cselect_b32 s5, ttmp9, s6
	s_delay_alu instid0(SALU_CYCLE_1) | instskip(NEXT) | instid1(VALU_DEP_1)
	v_mad_nc_u64_u32 v[2:3], s4, s5, v[0:1]
	v_cmp_gt_i64_e32 vcc_lo, s[2:3], v[2:3]
	s_mov_b32 s3, 0
	s_and_saveexec_b32 s2, vcc_lo
	s_cbranch_execz .LBB6_4
; %bb.1:
	s_load_b256 s[20:27], s[0:1], 0x88
	v_lshlrev_b32_e32 v0, 5, v2
	s_clause 0x1
	s_load_b128 s[28:31], s[0:1], 0xa8
	s_load_b512 s[4:19], s[0:1], 0x40
	v_dual_mov_b32 v3, v1 :: v_dual_mov_b32 v27, v1
	v_mov_b32_e32 v25, v1
	s_wait_kmcnt 0x0
	v_mul_hi_u32 v2, s20, v0
	s_delay_alu instid0(VALU_DEP_1) | instskip(NEXT) | instid1(VALU_DEP_1)
	v_add_nc_u32_e32 v2, v0, v2
	v_lshrrev_b32_e32 v10, s21, v2
	s_delay_alu instid0(VALU_DEP_1) | instskip(NEXT) | instid1(VALU_DEP_1)
	v_mul_hi_u32 v2, v10, s23
	v_add_nc_u32_e32 v2, v10, v2
	s_delay_alu instid0(VALU_DEP_1) | instskip(NEXT) | instid1(VALU_DEP_1)
	v_lshrrev_b32_e32 v6, s24, v2
	v_mul_hi_u32 v2, v6, s26
	s_delay_alu instid0(VALU_DEP_1) | instskip(NEXT) | instid1(VALU_DEP_1)
	v_add_nc_u32_e32 v2, v6, v2
	v_lshrrev_b32_e32 v24, s27, v2
	v_mul_lo_u32 v4, v6, s25
	s_delay_alu instid0(VALU_DEP_2) | instskip(SKIP_2) | instid1(VALU_DEP_3)
	v_mul_lo_u32 v7, v24, s28
	v_mul_u64_e32 v[8:9], s[8:9], v[24:25]
	s_load_b64 s[8:9], s[0:1], 0x10
	v_sub_nc_u32_e32 v2, v10, v4
	v_mul_lo_u32 v10, v10, s22
	s_load_b96 s[20:22], s[0:1], 0xb8
	s_delay_alu instid0(VALU_DEP_4) | instskip(NEXT) | instid1(VALU_DEP_3)
	v_sub_nc_u32_e32 v26, v6, v7
	v_mul_u64_e32 v[4:5], s[4:5], v[2:3]
	v_mul_u64_e32 v[2:3], s[10:11], v[2:3]
	s_delay_alu instid0(VALU_DEP_3) | instskip(SKIP_4) | instid1(VALU_DEP_1)
	v_mul_u64_e32 v[6:7], s[6:7], v[26:27]
	s_load_b128 s[4:7], s[0:1], 0x0
	v_sub_nc_u32_e32 v0, v0, v10
	s_wait_xcnt 0x0
	s_load_b64 s[0:1], s[0:1], 0x80
	v_lshlrev_b64_e32 v[22:23], 2, v[0:1]
	v_lshlrev_b64_e32 v[20:21], 2, v[8:9]
	;; [unrolled: 1-line block ×3, first 2 shown]
	s_wait_kmcnt 0x0
	v_lshl_add_u64 v[2:3], v[2:3], 3, s[6:7]
	v_lshlrev_b64_e32 v[18:19], 2, v[6:7]
	v_mov_b32_e32 v7, v1
	s_delay_alu instid0(VALU_DEP_4) | instskip(NEXT) | instid1(VALU_DEP_1)
	v_add_nc_u64_e32 v[4:5], s[4:5], v[16:17]
	v_add_nc_u64_e32 v[4:5], v[4:5], v[18:19]
	s_delay_alu instid0(VALU_DEP_1) | instskip(NEXT) | instid1(VALU_DEP_1)
	v_add_nc_u64_e32 v[4:5], v[4:5], v[20:21]
	v_add_nc_u64_e32 v[14:15], v[4:5], v[22:23]
	v_mul_hi_u32 v4, v26, s29
	v_mul_hi_u32 v5, v24, s20
	s_clause 0x3
	global_load_b128 v[28:31], v[14:15], off
	global_load_b128 v[32:35], v[14:15], off offset:16
	global_load_b128 v[36:39], v[14:15], off offset:32
	;; [unrolled: 1-line block ×3, first 2 shown]
	v_dual_add_nc_u32 v4, v26, v4 :: v_dual_add_nc_u32 v5, v24, v5
	v_lshrrev_b32_e32 v0, 5, v0
	s_delay_alu instid0(VALU_DEP_2) | instskip(NEXT) | instid1(VALU_DEP_1)
	v_lshrrev_b32_e32 v4, s30, v4
	v_mul_lo_u32 v4, v4, s31
	s_delay_alu instid0(VALU_DEP_1) | instskip(NEXT) | instid1(VALU_DEP_1)
	v_dual_lshrrev_b32 v5, s21, v5 :: v_dual_sub_nc_u32 v4, v26, v4
	v_mul_lo_u32 v6, v5, s22
	v_mov_b32_e32 v5, v1
	s_delay_alu instid0(VALU_DEP_1) | instskip(NEXT) | instid1(VALU_DEP_1)
	v_mul_u64_e32 v[4:5], s[12:13], v[4:5]
	v_lshl_add_u64 v[2:3], v[4:5], 3, v[2:3]
	s_wait_loadcnt 0x3
	v_cmp_gt_f32_e32 vcc_lo, v28, v29
	v_cndmask_b32_e32 v25, v28, v29, vcc_lo
	v_cmp_gt_f32_e32 vcc_lo, v29, v28
	v_cndmask_b32_e32 v27, v28, v29, vcc_lo
	s_delay_alu instid0(VALU_DEP_3) | instskip(SKIP_1) | instid1(VALU_DEP_3)
	v_cmp_gt_f32_e32 vcc_lo, v25, v30
	v_cndmask_b32_e32 v25, v25, v30, vcc_lo
	v_cmp_gt_f32_e32 vcc_lo, v30, v27
	v_cndmask_b32_e32 v27, v27, v30, vcc_lo
	s_delay_alu instid0(VALU_DEP_3) | instskip(SKIP_1) | instid1(VALU_DEP_1)
	v_cmp_gt_f32_e32 vcc_lo, v25, v31
	v_dual_cndmask_b32 v25, v25, v31 :: v_dual_sub_nc_u32 v6, v24, v6
	v_mul_u64_e32 v[10:11], s[14:15], v[6:7]
	global_load_b128 v[6:9], v[14:15], off offset:48
	v_cmp_gt_f32_e32 vcc_lo, v31, v27
	v_cndmask_b32_e32 v27, v27, v31, vcc_lo
	s_wait_loadcnt 0x3
	v_cmp_gt_f32_e32 vcc_lo, v25, v32
	v_cndmask_b32_e32 v25, v25, v32, vcc_lo
	s_delay_alu instid0(VALU_DEP_3) | instskip(SKIP_1) | instid1(VALU_DEP_3)
	v_cmp_gt_f32_e32 vcc_lo, v32, v27
	v_cndmask_b32_e32 v27, v27, v32, vcc_lo
	v_cmp_gt_f32_e32 vcc_lo, v25, v33
	v_cndmask_b32_e32 v25, v25, v33, vcc_lo
	s_delay_alu instid0(VALU_DEP_3)
	v_cmp_gt_f32_e32 vcc_lo, v33, v27
	v_cndmask_b32_e32 v27, v27, v33, vcc_lo
	v_lshl_add_u64 v[48:49], v[10:11], 3, v[2:3]
	global_load_b64 v[50:51], v[48:49], off
	s_clause 0x2
	global_load_b128 v[44:47], v[14:15], off offset:80
	global_load_b128 v[10:13], v[14:15], off offset:96
	;; [unrolled: 1-line block ×3, first 2 shown]
	v_cmp_gt_f32_e32 vcc_lo, v25, v34
	v_cndmask_b32_e32 v25, v25, v34, vcc_lo
	v_cmp_gt_f32_e32 vcc_lo, v34, v27
	v_cndmask_b32_e32 v27, v27, v34, vcc_lo
	s_delay_alu instid0(VALU_DEP_3) | instskip(SKIP_1) | instid1(VALU_DEP_3)
	v_cmp_gt_f32_e32 vcc_lo, v25, v35
	v_cndmask_b32_e32 v25, v25, v35, vcc_lo
	v_cmp_gt_f32_e32 vcc_lo, v35, v27
	v_cndmask_b32_e32 v27, v27, v35, vcc_lo
	s_wait_loadcnt 0x6
	s_delay_alu instid0(VALU_DEP_3) | instskip(SKIP_1) | instid1(VALU_DEP_3)
	v_cmp_gt_f32_e32 vcc_lo, v25, v36
	v_cndmask_b32_e32 v25, v25, v36, vcc_lo
	v_cmp_gt_f32_e32 vcc_lo, v36, v27
	v_cndmask_b32_e32 v27, v27, v36, vcc_lo
	s_delay_alu instid0(VALU_DEP_3) | instskip(SKIP_1) | instid1(VALU_DEP_3)
	v_cmp_lt_f32_e32 vcc_lo, v37, v25
	v_cndmask_b32_e32 v25, v25, v37, vcc_lo
	v_cmp_gt_f32_e32 vcc_lo, v37, v27
	v_cndmask_b32_e32 v27, v27, v37, vcc_lo
	s_delay_alu instid0(VALU_DEP_3) | instskip(SKIP_1) | instid1(VALU_DEP_3)
	v_cmp_gt_f32_e32 vcc_lo, v25, v38
	v_cndmask_b32_e32 v25, v25, v38, vcc_lo
	v_cmp_gt_f32_e32 vcc_lo, v38, v27
	v_cndmask_b32_e32 v27, v27, v38, vcc_lo
	s_delay_alu instid0(VALU_DEP_3) | instskip(SKIP_1) | instid1(VALU_DEP_3)
	v_cmp_gt_f32_e32 vcc_lo, v25, v39
	v_cndmask_b32_e32 v25, v25, v39, vcc_lo
	v_cmp_gt_f32_e32 vcc_lo, v39, v27
	v_cndmask_b32_e32 v27, v27, v39, vcc_lo
	s_wait_loadcnt 0x4
	s_delay_alu instid0(VALU_DEP_3) | instskip(SKIP_1) | instid1(VALU_DEP_3)
	v_cmp_gt_f32_e32 vcc_lo, v25, v6
	v_cndmask_b32_e32 v25, v25, v6, vcc_lo
	v_cmp_gt_f32_e32 vcc_lo, v6, v27
	v_cndmask_b32_e32 v6, v27, v6, vcc_lo
	s_delay_alu instid0(VALU_DEP_3) | instskip(SKIP_1) | instid1(VALU_DEP_3)
	v_cmp_gt_f32_e32 vcc_lo, v25, v7
	v_cndmask_b32_e32 v25, v25, v7, vcc_lo
	v_cmp_gt_f32_e32 vcc_lo, v7, v6
	v_cndmask_b32_e32 v6, v6, v7, vcc_lo
	;; [unrolled: 5-line block ×6, first 2 shown]
	s_delay_alu instid0(VALU_DEP_3)
	v_cmp_gt_f32_e32 vcc_lo, v8, v42
	s_wait_loadcnt 0x3
	v_mul_u64_e32 v[6:7], s[16:17], v[50:51]
	v_cndmask_b32_e32 v8, v8, v42, vcc_lo
	v_cmp_gt_f32_e32 vcc_lo, v42, v9
	v_cndmask_b32_e32 v9, v9, v42, vcc_lo
	s_delay_alu instid0(VALU_DEP_3) | instskip(SKIP_1) | instid1(VALU_DEP_3)
	v_cmp_gt_f32_e32 vcc_lo, v8, v43
	v_cndmask_b32_e32 v8, v8, v43, vcc_lo
	v_cmp_gt_f32_e32 vcc_lo, v43, v9
	v_cndmask_b32_e32 v9, v9, v43, vcc_lo
	s_wait_loadcnt 0x2
	s_delay_alu instid0(VALU_DEP_3) | instskip(SKIP_1) | instid1(VALU_DEP_3)
	v_cmp_lt_f32_e32 vcc_lo, v44, v8
	v_cndmask_b32_e32 v8, v8, v44, vcc_lo
	v_cmp_gt_f32_e32 vcc_lo, v44, v9
	v_mad_nc_u64_u32 v[6:7], s0, v24, v[6:7]
	v_cndmask_b32_e32 v9, v9, v44, vcc_lo
	s_delay_alu instid0(VALU_DEP_4) | instskip(SKIP_1) | instid1(VALU_DEP_3)
	v_cmp_gt_f32_e32 vcc_lo, v8, v45
	v_cndmask_b32_e32 v8, v8, v45, vcc_lo
	v_cmp_gt_f32_e32 vcc_lo, v45, v9
	v_mad_u32 v7, s1, v24, v7
	s_mov_b64 s[0:1], 0xaaaaaaab
	v_cndmask_b32_e32 v9, v9, v45, vcc_lo
	v_cmp_gt_f32_e32 vcc_lo, v8, v46
	v_cndmask_b32_e32 v8, v8, v46, vcc_lo
	s_delay_alu instid0(VALU_DEP_3) | instskip(SKIP_2) | instid1(VALU_DEP_4)
	v_cmp_gt_f32_e32 vcc_lo, v46, v9
	v_mad_nc_u64_u32 v[6:7], s18, v26, v[6:7]
	v_cndmask_b32_e32 v9, v9, v46, vcc_lo
	v_cmp_gt_f32_e32 vcc_lo, v8, v47
	v_cndmask_b32_e32 v8, v8, v47, vcc_lo
	s_delay_alu instid0(VALU_DEP_3) | instskip(SKIP_2) | instid1(VALU_DEP_3)
	v_cmp_gt_f32_e32 vcc_lo, v47, v9
	v_cndmask_b32_e32 v9, v9, v47, vcc_lo
	s_wait_loadcnt 0x1
	v_cmp_gt_f32_e32 vcc_lo, v8, v10
	v_cndmask_b32_e32 v8, v8, v10, vcc_lo
	s_delay_alu instid0(VALU_DEP_3) | instskip(SKIP_1) | instid1(VALU_DEP_3)
	v_cmp_gt_f32_e32 vcc_lo, v10, v9
	v_cndmask_b32_e32 v9, v9, v10, vcc_lo
	v_cmp_gt_f32_e32 vcc_lo, v8, v11
	v_cndmask_b32_e32 v8, v8, v11, vcc_lo
	s_delay_alu instid0(VALU_DEP_3) | instskip(SKIP_1) | instid1(VALU_DEP_3)
	v_cmp_gt_f32_e32 vcc_lo, v11, v9
	v_cndmask_b32_e32 v9, v9, v11, vcc_lo
	;; [unrolled: 5-line block ×3, first 2 shown]
	v_cmp_gt_f32_e32 vcc_lo, v8, v13
	v_cndmask_b32_e32 v8, v8, v13, vcc_lo
	s_delay_alu instid0(VALU_DEP_3) | instskip(SKIP_2) | instid1(VALU_DEP_3)
	v_cmp_gt_f32_e32 vcc_lo, v13, v9
	v_cndmask_b32_e32 v9, v9, v13, vcc_lo
	s_wait_loadcnt 0x0
	v_cmp_gt_f32_e32 vcc_lo, v8, v2
	v_cndmask_b32_e32 v8, v8, v2, vcc_lo
	s_delay_alu instid0(VALU_DEP_3) | instskip(SKIP_1) | instid1(VALU_DEP_3)
	v_cmp_gt_f32_e32 vcc_lo, v2, v9
	v_cndmask_b32_e32 v2, v9, v2, vcc_lo
	v_cmp_gt_f32_e32 vcc_lo, v8, v3
	v_mad_u32 v9, s19, v26, v7
	v_dual_mov_b32 v7, v1 :: v_dual_cndmask_b32 v8, v8, v3
	s_delay_alu instid0(VALU_DEP_4) | instskip(SKIP_1) | instid1(VALU_DEP_3)
	v_cmp_gt_f32_e32 vcc_lo, v3, v2
	v_cndmask_b32_e32 v2, v2, v3, vcc_lo
	v_cmp_gt_f32_e32 vcc_lo, v8, v4
	v_cndmask_b32_e32 v8, v8, v4, vcc_lo
	s_delay_alu instid0(VALU_DEP_3) | instskip(SKIP_2) | instid1(VALU_DEP_4)
	v_cmp_gt_f32_e32 vcc_lo, v4, v2
	v_cndmask_b32_e32 v4, v2, v4, vcc_lo
	v_mul_u64_e32 v[2:3], s[0:1], v[6:7]
	v_cmp_gt_f32_e32 vcc_lo, v8, v5
	s_mov_b64 s[0:1], 0
	v_cndmask_b32_e32 v8, v8, v5, vcc_lo
	v_cmp_gt_f32_e32 vcc_lo, v5, v4
	v_dual_cndmask_b32 v2, v4, v5 :: v_dual_mov_b32 v5, v1
	s_delay_alu instid0(VALU_DEP_1) | instskip(NEXT) | instid1(VALU_DEP_1)
	v_dual_sub_f32 v7, v2, v8 :: v_dual_mov_b32 v4, v3
	v_div_scale_f32 v10, null, 0x41f80000, 0x41f80000, v7
	v_div_scale_f32 v12, vcc_lo, v7, 0x41f80000, v7
	s_delay_alu instid0(VALU_DEP_2) | instskip(SKIP_1) | instid1(TRANS32_DEP_1)
	v_rcp_f32_e32 v11, v10
	v_nop
	v_fma_f32 v2, -v10, v11, 1.0
	s_delay_alu instid0(VALU_DEP_1) | instskip(SKIP_1) | instid1(VALU_DEP_2)
	v_fmac_f32_e32 v11, v2, v11
	v_mad_nc_u64_u32 v[2:3], 0xaaaaaaab, v9, v[4:5]
	v_mul_f32_e32 v13, v12, v11
	s_delay_alu instid0(VALU_DEP_1) | instskip(NEXT) | instid1(VALU_DEP_1)
	v_fma_f32 v4, -v10, v13, v12
	v_dual_fmac_f32 v13, v4, v11 :: v_dual_mov_b32 v4, v3
	s_delay_alu instid0(VALU_DEP_1) | instskip(NEXT) | instid1(VALU_DEP_1)
	v_dual_mov_b32 v3, v1 :: v_dual_fma_f32 v5, -v10, v13, v12
	v_mad_nc_u64_u32 v[2:3], 0xaaaaaaaa, v6, v[2:3]
	s_delay_alu instid0(VALU_DEP_2) | instskip(NEXT) | instid1(VALU_DEP_1)
	v_div_fmas_f32 v5, v5, v11, v13
	v_div_fixup_f32 v11, v5, 0x41f80000, v7
	v_dual_mov_b32 v5, v1 :: v_dual_mov_b32 v7, v1
	s_delay_alu instid0(VALU_DEP_4) | instskip(SKIP_1) | instid1(VALU_DEP_4)
	v_mov_b32_e32 v6, v3
	v_mul_u64_e32 v[12:13], 24, v[0:1]
	v_div_scale_f32 v10, null, v11, v11, 1.0
	s_delay_alu instid0(VALU_DEP_3) | instskip(SKIP_1) | instid1(VALU_DEP_3)
	v_add_nc_u64_e32 v[2:3], v[4:5], v[6:7]
	v_add_nc_u64_e32 v[4:5], v[20:21], v[18:19]
	v_rcp_f32_e32 v0, v10
	s_delay_alu instid0(VALU_DEP_2) | instskip(NEXT) | instid1(VALU_DEP_2)
	v_mad_nc_u64_u32 v[2:3], 0xaaaaaaaa, v9, v[2:3]
	v_add_nc_u64_e32 v[4:5], v[4:5], v[16:17]
	s_delay_alu instid0(TRANS32_DEP_1) | instskip(SKIP_1) | instid1(VALU_DEP_2)
	v_fma_f32 v6, -v10, v0, 1.0
	v_div_scale_f32 v9, vcc_lo, 1.0, v11, 1.0
	v_dual_fmac_f32 v0, v6, v0 :: v_dual_lshrrev_b32 v17, 4, v3
	v_alignbit_b32 v16, v3, v2, 4
	v_add_nc_u64_e32 v[2:3], v[4:5], v[22:23]
	s_delay_alu instid0(VALU_DEP_3) | instskip(NEXT) | instid1(VALU_DEP_3)
	v_mul_lo_u32 v4, v17, 24
	v_mad_nc_u64_u32 v[6:7], v16, 24, s[8:9]
	v_mul_f32_e32 v18, v9, v0
	s_delay_alu instid0(VALU_DEP_4) | instskip(SKIP_1) | instid1(VALU_DEP_3)
	v_add_nc_u64_e32 v[2:3], s[4:5], v[2:3]
	v_mad_nc_u64_u32 v[16:17], v16, 24, v[12:13]
	v_dual_add_nc_u32 v7, v4, v7 :: v_dual_fma_f32 v19, -v10, v18, v9
	s_delay_alu instid0(VALU_DEP_1) | instskip(NEXT) | instid1(VALU_DEP_1)
	v_dual_fmac_f32 v18, v19, v0 :: v_dual_add_nc_u32 v17, v4, v17
	v_dual_fma_f32 v5, -v10, v18, v9 :: v_dual_mov_b32 v9, 0
	s_delay_alu instid0(VALU_DEP_1)
	v_div_fmas_f32 v0, v5, v0, v18
	v_cmp_neq_f32_e32 vcc_lo, 0, v11
	v_add_nc_u64_e32 v[4:5], 64, v[2:3]
	v_add_nc_u64_e32 v[2:3], v[6:7], v[12:13]
	;; [unrolled: 1-line block ×3, first 2 shown]
	v_div_fixup_f32 v0, v0, v11, 1.0
	v_mov_b32_e32 v10, 0
	v_cvt_pk_f16_f32 v12, v11, v8
	s_delay_alu instid0(VALU_DEP_3)
	v_cndmask_b32_e32 v0, 0, v0, vcc_lo
	global_store_b32 v[2:3], v12, off
.LBB6_2:                                ; =>This Inner Loop Header: Depth=1
	s_or_b32 s2, s0, 17
	s_delay_alu instid0(VALU_DEP_2)
	v_and_b32_e32 v10, 0xff0000, v10
	s_wait_xcnt 0x0
	v_lshl_add_u64 v[12:13], s[2:3], 2, v[14:15]
	v_and_b32_e32 v1, 0xffff, v1
	s_add_co_i32 s4, s0, 16
	s_add_co_i32 s5, s0, 1
	s_add_co_i32 s6, s0, 2
	global_load_b32 v11, v[12:13], off
	v_or3_b32 v1, v10, v9, v1
	s_add_co_i32 s7, s0, 3
	s_wait_loadcnt 0x0
	v_sub_f32_e32 v11, v11, v8
	s_delay_alu instid0(VALU_DEP_1) | instskip(NEXT) | instid1(VALU_DEP_1)
	v_fma_f32 v11, v0, v11, 0.5
	v_cvt_i32_f32_e32 v11, v11
	s_wait_xcnt 0x0
	s_delay_alu instid0(VALU_DEP_1) | instskip(SKIP_1) | instid1(VALU_DEP_2)
	v_lshrrev_b16 v12, 4, v11
	v_lshlrev_b16 v11, 12, v11
	v_and_b32_e32 v12, 1, v12
	s_delay_alu instid0(VALU_DEP_1) | instskip(NEXT) | instid1(VALU_DEP_1)
	v_and_b32_e32 v12, 0xffff, v12
	v_lshlrev_b32_e32 v20, s2, v12
	s_or_b32 s2, s0, 18
	s_delay_alu instid0(SALU_CYCLE_1)
	v_lshl_add_u64 v[12:13], s[2:3], 2, v[14:15]
	global_load_b32 v16, v[12:13], off
	global_load_b32 v21, v[4:5], off
	s_wait_loadcnt 0x1
	s_wait_xcnt 0x1
	v_sub_f32_e32 v12, v16, v8
	global_load_b128 v[16:19], v[4:5], off offset:-64
	s_wait_loadcnt 0x1
	v_sub_f32_e32 v9, v21, v8
	s_wait_xcnt 0x0
	v_add_nc_u64_e32 v[4:5], 16, v[4:5]
	v_fma_f32 v12, v0, v12, 0.5
	s_delay_alu instid0(VALU_DEP_1) | instskip(NEXT) | instid1(VALU_DEP_1)
	v_cvt_i32_f32_e32 v22, v12
	v_lshrrev_b16 v12, 4, v22
	s_delay_alu instid0(VALU_DEP_1) | instskip(NEXT) | instid1(VALU_DEP_1)
	v_and_b32_e32 v12, 1, v12
	v_and_b32_e32 v12, 0xffff, v12
	s_wait_loadcnt 0x0
	v_sub_f32_e32 v10, v16, v8
	v_fma_f32 v9, v0, v9, 0.5
	v_dual_sub_f32 v16, v17, v8 :: v_dual_sub_f32 v17, v18, v8
	s_delay_alu instid0(VALU_DEP_3) | instskip(NEXT) | instid1(VALU_DEP_3)
	v_fma_f32 v10, v0, v10, 0.5
	v_cvt_i32_f32_e32 v9, v9
	s_delay_alu instid0(VALU_DEP_3) | instskip(NEXT) | instid1(VALU_DEP_4)
	v_fma_f32 v16, v0, v16, 0.5
	v_fma_f32 v17, v0, v17, 0.5
	s_delay_alu instid0(VALU_DEP_4) | instskip(NEXT) | instid1(VALU_DEP_3)
	v_cvt_i32_f32_e32 v10, v10
	v_cvt_i32_f32_e32 v16, v16
	s_delay_alu instid0(VALU_DEP_3) | instskip(NEXT) | instid1(VALU_DEP_3)
	v_cvt_i32_f32_e32 v17, v17
	v_lshrrev_b16 v21, 4, v10
	v_sub_f32_e32 v18, v19, v8
	v_lshlrev_b16 v19, 4, v9
	v_lshrrev_b16 v9, 4, v9
	v_lshrrev_b16 v26, 4, v17
	s_delay_alu instid0(VALU_DEP_3) | instskip(SKIP_2) | instid1(VALU_DEP_4)
	v_bitop3_b16 v10, v19, v10, 15 bitop3:0xf8
	v_and_b32_e32 v19, 1, v21
	v_fma_f32 v18, v0, v18, 0.5
	v_and_b32_e32 v21, 1, v26
	s_delay_alu instid0(VALU_DEP_3) | instskip(NEXT) | instid1(VALU_DEP_3)
	v_and_b32_e32 v19, 0xffff, v19
	v_cvt_i32_f32_e32 v18, v18
	v_lshlrev_b32_e32 v23, s2, v12
	s_or_b32 s2, s0, 19
	v_and_b32_e32 v21, 0xffff, v21
	v_lshl_add_u64 v[12:13], s[2:3], 2, v[14:15]
	v_dual_lshlrev_b32 v19, s0, v19 :: v_dual_bitop2_b32 v27, 15, v18 bitop3:0x40
	v_lshrrev_b16 v18, 4, v18
	s_delay_alu instid0(VALU_DEP_4)
	v_lshlrev_b32_e32 v21, s6, v21
	global_load_b32 v24, v[12:13], off
	v_and_b32_e32 v9, 1, v9
	v_lshlrev_b16 v26, 8, v27
	s_wait_xcnt 0x0
	v_add_nc_u64_e32 v[12:13], s[0:1], v[6:7]
	s_add_nc_u64 s[0:1], s[0:1], 4
	s_delay_alu instid0(SALU_CYCLE_1)
	s_cmp_lg_u32 s0, 16
	s_wait_loadcnt 0x0
	v_sub_f32_e32 v24, v24, v8
	v_and_b32_e32 v9, 0xffff, v9
	v_and_b32_e32 v25, 15, v16
	v_lshrrev_b16 v16, 4, v16
	s_delay_alu instid0(VALU_DEP_4) | instskip(NEXT) | instid1(VALU_DEP_4)
	v_fma_f32 v24, v0, v24, 0.5
	v_lshlrev_b32_e32 v9, s4, v9
	s_delay_alu instid0(VALU_DEP_4) | instskip(NEXT) | instid1(VALU_DEP_4)
	v_lshlrev_b16 v25, 8, v25
	v_and_b32_e32 v16, 1, v16
	s_delay_alu instid0(VALU_DEP_4) | instskip(NEXT) | instid1(VALU_DEP_4)
	v_cvt_i32_f32_e32 v24, v24
	v_or3_b32 v1, v19, v1, v9
	v_lshlrev_b16 v9, 4, v22
	s_delay_alu instid0(VALU_DEP_4)
	v_and_b32_e32 v16, 0xffff, v16
	v_or_b32_e32 v11, v11, v25
	v_lshrrev_b16 v22, 4, v24
	v_lshlrev_b16 v19, 12, v24
	v_bitop3_b16 v9, v9, v17, 15 bitop3:0xf8
	v_lshlrev_b32_e32 v16, s5, v16
	v_bitop3_b16 v10, v10, v11, 0xff bitop3:0xec
	v_and_b32_e32 v17, 1, v22
	s_delay_alu instid0(VALU_DEP_3) | instskip(NEXT) | instid1(VALU_DEP_3)
	v_or3_b32 v1, v16, v1, v20
	v_and_b32_e32 v10, 0xffff, v10
	s_delay_alu instid0(VALU_DEP_3) | instskip(SKIP_1) | instid1(VALU_DEP_4)
	v_and_b32_e32 v11, 0xffff, v17
	v_or_b32_e32 v16, v19, v26
	v_or3_b32 v1, v21, v1, v23
	s_delay_alu instid0(VALU_DEP_3) | instskip(NEXT) | instid1(VALU_DEP_3)
	v_lshlrev_b32_e32 v11, s2, v11
	v_bitop3_b16 v9, v9, v16, 0xff bitop3:0xec
	s_delay_alu instid0(VALU_DEP_1) | instskip(NEXT) | instid1(VALU_DEP_1)
	v_dual_lshlrev_b32 v9, 16, v9 :: v_dual_bitop2_b32 v18, 1, v18 bitop3:0x40
	v_and_b32_e32 v18, 0xffff, v18
	s_delay_alu instid0(VALU_DEP_2) | instskip(NEXT) | instid1(VALU_DEP_2)
	v_or_b32_e32 v16, v10, v9
	v_lshl_or_b32 v1, v18, s7, v1
	global_store_b32 v[12:13], v16, off offset:8
	v_or_b32_e32 v10, v1, v11
	v_bitop3_b32 v9, v1, 0xff000000, v11 bitop3:0xc8
	s_cbranch_scc1 .LBB6_2
; %bb.3:
	s_delay_alu instid0(VALU_DEP_2)
	v_bfi_b32 v0, 0xffff, v1, v10
	global_store_b32 v[2:3], v0, off offset:4
.LBB6_4:
	s_endpgm
	.section	.rodata,"a",@progbits
	.p2align	6, 0x0
	.amdhsa_kernel _ZL16k_set_rows_quantIl10block_q5_1Li32ETnPFvPKfPT0_EXadL_ZL23quantize_f32_q5_1_blockS2_PS0_EEEvS2_PKT_S4_llllllllllllll15HIP_vector_typeIjLj3EESC_SC_SC_SC_
		.amdhsa_group_segment_fixed_size 0
		.amdhsa_private_segment_fixed_size 0
		.amdhsa_kernarg_size 456
		.amdhsa_user_sgpr_count 2
		.amdhsa_user_sgpr_dispatch_ptr 0
		.amdhsa_user_sgpr_queue_ptr 0
		.amdhsa_user_sgpr_kernarg_segment_ptr 1
		.amdhsa_user_sgpr_dispatch_id 0
		.amdhsa_user_sgpr_kernarg_preload_length 0
		.amdhsa_user_sgpr_kernarg_preload_offset 0
		.amdhsa_user_sgpr_private_segment_size 0
		.amdhsa_wavefront_size32 1
		.amdhsa_uses_dynamic_stack 0
		.amdhsa_enable_private_segment 0
		.amdhsa_system_sgpr_workgroup_id_x 1
		.amdhsa_system_sgpr_workgroup_id_y 0
		.amdhsa_system_sgpr_workgroup_id_z 0
		.amdhsa_system_sgpr_workgroup_info 0
		.amdhsa_system_vgpr_workitem_id 0
		.amdhsa_next_free_vgpr 52
		.amdhsa_next_free_sgpr 32
		.amdhsa_named_barrier_count 0
		.amdhsa_reserve_vcc 1
		.amdhsa_float_round_mode_32 0
		.amdhsa_float_round_mode_16_64 0
		.amdhsa_float_denorm_mode_32 3
		.amdhsa_float_denorm_mode_16_64 3
		.amdhsa_fp16_overflow 0
		.amdhsa_memory_ordered 1
		.amdhsa_forward_progress 1
		.amdhsa_inst_pref_size 20
		.amdhsa_round_robin_scheduling 0
		.amdhsa_exception_fp_ieee_invalid_op 0
		.amdhsa_exception_fp_denorm_src 0
		.amdhsa_exception_fp_ieee_div_zero 0
		.amdhsa_exception_fp_ieee_overflow 0
		.amdhsa_exception_fp_ieee_underflow 0
		.amdhsa_exception_fp_ieee_inexact 0
		.amdhsa_exception_int_div_zero 0
	.end_amdhsa_kernel
	.section	.text._ZL16k_set_rows_quantIl10block_q5_1Li32ETnPFvPKfPT0_EXadL_ZL23quantize_f32_q5_1_blockS2_PS0_EEEvS2_PKT_S4_llllllllllllll15HIP_vector_typeIjLj3EESC_SC_SC_SC_,"axG",@progbits,_ZL16k_set_rows_quantIl10block_q5_1Li32ETnPFvPKfPT0_EXadL_ZL23quantize_f32_q5_1_blockS2_PS0_EEEvS2_PKT_S4_llllllllllllll15HIP_vector_typeIjLj3EESC_SC_SC_SC_,comdat
.Lfunc_end6:
	.size	_ZL16k_set_rows_quantIl10block_q5_1Li32ETnPFvPKfPT0_EXadL_ZL23quantize_f32_q5_1_blockS2_PS0_EEEvS2_PKT_S4_llllllllllllll15HIP_vector_typeIjLj3EESC_SC_SC_SC_, .Lfunc_end6-_ZL16k_set_rows_quantIl10block_q5_1Li32ETnPFvPKfPT0_EXadL_ZL23quantize_f32_q5_1_blockS2_PS0_EEEvS2_PKT_S4_llllllllllllll15HIP_vector_typeIjLj3EESC_SC_SC_SC_
                                        ; -- End function
	.set _ZL16k_set_rows_quantIl10block_q5_1Li32ETnPFvPKfPT0_EXadL_ZL23quantize_f32_q5_1_blockS2_PS0_EEEvS2_PKT_S4_llllllllllllll15HIP_vector_typeIjLj3EESC_SC_SC_SC_.num_vgpr, 52
	.set _ZL16k_set_rows_quantIl10block_q5_1Li32ETnPFvPKfPT0_EXadL_ZL23quantize_f32_q5_1_blockS2_PS0_EEEvS2_PKT_S4_llllllllllllll15HIP_vector_typeIjLj3EESC_SC_SC_SC_.num_agpr, 0
	.set _ZL16k_set_rows_quantIl10block_q5_1Li32ETnPFvPKfPT0_EXadL_ZL23quantize_f32_q5_1_blockS2_PS0_EEEvS2_PKT_S4_llllllllllllll15HIP_vector_typeIjLj3EESC_SC_SC_SC_.numbered_sgpr, 32
	.set _ZL16k_set_rows_quantIl10block_q5_1Li32ETnPFvPKfPT0_EXadL_ZL23quantize_f32_q5_1_blockS2_PS0_EEEvS2_PKT_S4_llllllllllllll15HIP_vector_typeIjLj3EESC_SC_SC_SC_.num_named_barrier, 0
	.set _ZL16k_set_rows_quantIl10block_q5_1Li32ETnPFvPKfPT0_EXadL_ZL23quantize_f32_q5_1_blockS2_PS0_EEEvS2_PKT_S4_llllllllllllll15HIP_vector_typeIjLj3EESC_SC_SC_SC_.private_seg_size, 0
	.set _ZL16k_set_rows_quantIl10block_q5_1Li32ETnPFvPKfPT0_EXadL_ZL23quantize_f32_q5_1_blockS2_PS0_EEEvS2_PKT_S4_llllllllllllll15HIP_vector_typeIjLj3EESC_SC_SC_SC_.uses_vcc, 1
	.set _ZL16k_set_rows_quantIl10block_q5_1Li32ETnPFvPKfPT0_EXadL_ZL23quantize_f32_q5_1_blockS2_PS0_EEEvS2_PKT_S4_llllllllllllll15HIP_vector_typeIjLj3EESC_SC_SC_SC_.uses_flat_scratch, 0
	.set _ZL16k_set_rows_quantIl10block_q5_1Li32ETnPFvPKfPT0_EXadL_ZL23quantize_f32_q5_1_blockS2_PS0_EEEvS2_PKT_S4_llllllllllllll15HIP_vector_typeIjLj3EESC_SC_SC_SC_.has_dyn_sized_stack, 0
	.set _ZL16k_set_rows_quantIl10block_q5_1Li32ETnPFvPKfPT0_EXadL_ZL23quantize_f32_q5_1_blockS2_PS0_EEEvS2_PKT_S4_llllllllllllll15HIP_vector_typeIjLj3EESC_SC_SC_SC_.has_recursion, 0
	.set _ZL16k_set_rows_quantIl10block_q5_1Li32ETnPFvPKfPT0_EXadL_ZL23quantize_f32_q5_1_blockS2_PS0_EEEvS2_PKT_S4_llllllllllllll15HIP_vector_typeIjLj3EESC_SC_SC_SC_.has_indirect_call, 0
	.section	.AMDGPU.csdata,"",@progbits
; Kernel info:
; codeLenInByte = 2528
; TotalNumSgprs: 34
; NumVgprs: 52
; ScratchSize: 0
; MemoryBound: 0
; FloatMode: 240
; IeeeMode: 1
; LDSByteSize: 0 bytes/workgroup (compile time only)
; SGPRBlocks: 0
; VGPRBlocks: 3
; NumSGPRsForWavesPerEU: 34
; NumVGPRsForWavesPerEU: 52
; NamedBarCnt: 0
; Occupancy: 16
; WaveLimiterHint : 1
; COMPUTE_PGM_RSRC2:SCRATCH_EN: 0
; COMPUTE_PGM_RSRC2:USER_SGPR: 2
; COMPUTE_PGM_RSRC2:TRAP_HANDLER: 0
; COMPUTE_PGM_RSRC2:TGID_X_EN: 1
; COMPUTE_PGM_RSRC2:TGID_Y_EN: 0
; COMPUTE_PGM_RSRC2:TGID_Z_EN: 0
; COMPUTE_PGM_RSRC2:TIDIG_COMP_CNT: 0
	.section	.text._ZL16k_set_rows_quantIl10block_q8_0Li32ETnPFvPKfPT0_EXadL_ZL23quantize_f32_q8_0_blockS2_PS0_EEEvS2_PKT_S4_llllllllllllll15HIP_vector_typeIjLj3EESC_SC_SC_SC_,"axG",@progbits,_ZL16k_set_rows_quantIl10block_q8_0Li32ETnPFvPKfPT0_EXadL_ZL23quantize_f32_q8_0_blockS2_PS0_EEEvS2_PKT_S4_llllllllllllll15HIP_vector_typeIjLj3EESC_SC_SC_SC_,comdat
	.globl	_ZL16k_set_rows_quantIl10block_q8_0Li32ETnPFvPKfPT0_EXadL_ZL23quantize_f32_q8_0_blockS2_PS0_EEEvS2_PKT_S4_llllllllllllll15HIP_vector_typeIjLj3EESC_SC_SC_SC_ ; -- Begin function _ZL16k_set_rows_quantIl10block_q8_0Li32ETnPFvPKfPT0_EXadL_ZL23quantize_f32_q8_0_blockS2_PS0_EEEvS2_PKT_S4_llllllllllllll15HIP_vector_typeIjLj3EESC_SC_SC_SC_
	.p2align	8
	.type	_ZL16k_set_rows_quantIl10block_q8_0Li32ETnPFvPKfPT0_EXadL_ZL23quantize_f32_q8_0_blockS2_PS0_EEEvS2_PKT_S4_llllllllllllll15HIP_vector_typeIjLj3EESC_SC_SC_SC_,@function
_ZL16k_set_rows_quantIl10block_q8_0Li32ETnPFvPKfPT0_EXadL_ZL23quantize_f32_q8_0_blockS2_PS0_EEEvS2_PKT_S4_llllllllllllll15HIP_vector_typeIjLj3EESC_SC_SC_SC_: ; @_ZL16k_set_rows_quantIl10block_q8_0Li32ETnPFvPKfPT0_EXadL_ZL23quantize_f32_q8_0_blockS2_PS0_EEEvS2_PKT_S4_llllllllllllll15HIP_vector_typeIjLj3EESC_SC_SC_SC_
; %bb.0:
	s_clause 0x1
	s_load_b32 s4, s[0:1], 0xd4
	s_load_b64 s[2:3], s[0:1], 0x18
	s_bfe_u32 s5, ttmp6, 0x4000c
	s_and_b32 s6, ttmp6, 15
	s_add_co_i32 s5, s5, 1
	s_getreg_b32 s7, hwreg(HW_REG_IB_STS2, 6, 4)
	s_mul_i32 s5, ttmp9, s5
	v_mov_b32_e32 v1, 0
	s_add_co_i32 s6, s6, s5
	s_wait_kmcnt 0x0
	s_and_b32 s4, s4, 0xffff
	s_cmp_eq_u32 s7, 0
	s_cselect_b32 s5, ttmp9, s6
	s_delay_alu instid0(SALU_CYCLE_1) | instskip(NEXT) | instid1(VALU_DEP_1)
	v_mad_nc_u64_u32 v[2:3], s4, s5, v[0:1]
	v_cmp_gt_i64_e32 vcc_lo, s[2:3], v[2:3]
	s_and_saveexec_b32 s2, vcc_lo
	s_cbranch_execz .LBB7_2
; %bb.1:
	s_load_b256 s[20:27], s[0:1], 0x88
	v_lshlrev_b32_e32 v0, 5, v2
	s_clause 0x1
	s_load_b128 s[28:31], s[0:1], 0xa8
	s_load_b512 s[4:19], s[0:1], 0x40
	v_dual_mov_b32 v3, v1 :: v_dual_mov_b32 v37, v1
	v_mov_b32_e32 v35, v1
	s_load_b64 s[2:3], s[0:1], 0x10
	s_wait_kmcnt 0x0
	v_mul_hi_u32 v2, s20, v0
	s_delay_alu instid0(VALU_DEP_1) | instskip(NEXT) | instid1(VALU_DEP_1)
	v_add_nc_u32_e32 v2, v0, v2
	v_lshrrev_b32_e32 v10, s21, v2
	s_delay_alu instid0(VALU_DEP_1) | instskip(NEXT) | instid1(VALU_DEP_1)
	v_mul_hi_u32 v2, v10, s23
	v_add_nc_u32_e32 v2, v10, v2
	s_delay_alu instid0(VALU_DEP_1) | instskip(NEXT) | instid1(VALU_DEP_1)
	v_lshrrev_b32_e32 v6, s24, v2
	v_mul_hi_u32 v2, v6, s26
	s_delay_alu instid0(VALU_DEP_1) | instskip(NEXT) | instid1(VALU_DEP_1)
	v_add_nc_u32_e32 v2, v6, v2
	v_lshrrev_b32_e32 v34, s27, v2
	v_mul_lo_u32 v4, v6, s25
	s_load_b96 s[24:26], s[0:1], 0xb8
	s_delay_alu instid0(VALU_DEP_2) | instskip(SKIP_1) | instid1(VALU_DEP_3)
	v_mul_lo_u32 v7, v34, s28
	v_mul_u64_e32 v[8:9], s[8:9], v[34:35]
	v_sub_nc_u32_e32 v2, v10, v4
	v_mul_lo_u32 v10, v10, s22
	s_delay_alu instid0(VALU_DEP_4) | instskip(NEXT) | instid1(VALU_DEP_3)
	v_sub_nc_u32_e32 v36, v6, v7
	v_mul_u64_e32 v[4:5], s[4:5], v[2:3]
	v_mul_u64_e32 v[2:3], s[10:11], v[2:3]
	s_delay_alu instid0(VALU_DEP_3)
	v_mul_u64_e32 v[6:7], s[6:7], v[36:37]
	v_mul_hi_u32 v11, v36, s29
	s_wait_kmcnt 0x0
	v_mul_hi_u32 v12, v34, s24
	s_load_b128 s[4:7], s[0:1], 0x0
	v_sub_nc_u32_e32 v0, v0, v10
	s_wait_xcnt 0x0
	s_load_b64 s[0:1], s[0:1], 0x80
	s_delay_alu instid0(VALU_DEP_2) | instskip(NEXT) | instid1(VALU_DEP_1)
	v_dual_add_nc_u32 v11, v36, v11 :: v_dual_add_nc_u32 v12, v34, v12
	v_dual_lshrrev_b32 v11, s30, v11 :: v_dual_lshrrev_b32 v12, s25, v12
	s_delay_alu instid0(VALU_DEP_1) | instskip(NEXT) | instid1(VALU_DEP_2)
	v_mul_lo_u32 v11, v11, s31
	v_mul_lo_u32 v14, v12, s26
	v_mov_b32_e32 v13, v1
	s_wait_kmcnt 0x0
	v_lshl_add_u64 v[4:5], v[4:5], 2, s[4:5]
	v_lshl_add_u64 v[2:3], v[2:3], 3, s[6:7]
	s_delay_alu instid0(VALU_DEP_2) | instskip(SKIP_2) | instid1(VALU_DEP_3)
	v_lshl_add_u64 v[4:5], v[6:7], 2, v[4:5]
	v_dual_mov_b32 v7, v1 :: v_dual_sub_nc_u32 v12, v36, v11
	v_sub_nc_u32_e32 v6, v34, v14
	v_lshl_add_u64 v[4:5], v[8:9], 2, v[4:5]
	s_delay_alu instid0(VALU_DEP_3) | instskip(NEXT) | instid1(VALU_DEP_2)
	v_mul_u64_e32 v[14:15], s[12:13], v[12:13]
	v_lshl_add_u64 v[38:39], v[0:1], 2, v[4:5]
	s_delay_alu instid0(VALU_DEP_4)
	v_mul_u64_e32 v[4:5], s[14:15], v[6:7]
	s_clause 0x2
	global_load_b128 v[10:13], v[38:39], off
	global_load_b128 v[22:25], v[38:39], off offset:16
	global_load_b128 v[6:9], v[38:39], off offset:32
	v_lshl_add_u64 v[2:3], v[14:15], 3, v[2:3]
	s_delay_alu instid0(VALU_DEP_1)
	v_lshl_add_u64 v[40:41], v[4:5], 3, v[2:3]
	global_load_b128 v[30:33], v[38:39], off offset:48
	global_load_b64 v[42:43], v[40:41], off
	s_clause 0x3
	global_load_b128 v[14:17], v[38:39], off offset:64
	global_load_b128 v[26:29], v[38:39], off offset:80
	;; [unrolled: 1-line block ×4, first 2 shown]
	s_wait_loadcnt 0x8
	v_max3_num_f32 v35, |v10|, 0, |v11|
	s_delay_alu instid0(VALU_DEP_1) | instskip(SKIP_1) | instid1(VALU_DEP_1)
	v_max3_num_f32 v35, v35, |v12|, |v13|
	s_wait_loadcnt 0x7
	v_max3_num_f32 v35, v35, |v22|, |v23|
	s_delay_alu instid0(VALU_DEP_1) | instskip(SKIP_1) | instid1(VALU_DEP_1)
	v_max3_num_f32 v35, v35, |v24|, |v25|
	s_wait_loadcnt 0x6
	v_max3_num_f32 v35, v35, |v6|, |v7|
	s_delay_alu instid0(VALU_DEP_1) | instskip(SKIP_3) | instid1(VALU_DEP_2)
	v_max3_num_f32 v35, v35, |v8|, |v9|
	s_wait_loadcnt 0x4
	s_wait_xcnt 0x0
	v_mul_u64_e32 v[38:39], s[16:17], v[42:43]
	v_max3_num_f32 v35, v35, |v30|, |v31|
	s_delay_alu instid0(VALU_DEP_1) | instskip(SKIP_1) | instid1(VALU_DEP_1)
	v_max3_num_f32 v35, v35, |v32|, |v33|
	s_wait_loadcnt 0x3
	v_max3_num_f32 v35, v35, |v14|, |v15|
	s_delay_alu instid0(VALU_DEP_1) | instskip(SKIP_1) | instid1(VALU_DEP_1)
	v_max3_num_f32 v35, v35, |v16|, |v17|
	s_wait_loadcnt 0x2
	v_max3_num_f32 v35, v35, |v26|, |v27|
	s_delay_alu instid0(VALU_DEP_1) | instskip(SKIP_1) | instid1(VALU_DEP_1)
	v_max3_num_f32 v35, v35, |v28|, |v29|
	s_wait_loadcnt 0x1
	v_max3_num_f32 v35, v35, |v2|, |v3|
	v_mad_nc_u64_u32 v[38:39], s0, v34, v[38:39]
	s_delay_alu instid0(VALU_DEP_2) | instskip(SKIP_1) | instid1(VALU_DEP_1)
	v_max3_num_f32 v35, v35, |v4|, |v5|
	s_wait_loadcnt 0x0
	v_max3_num_f32 v35, v35, |v18|, |v19|
	s_delay_alu instid0(VALU_DEP_3) | instskip(SKIP_1) | instid1(VALU_DEP_2)
	v_mad_u32 v39, s1, v34, v39
	s_mov_b64 s[0:1], 0xf0f0f0f1
	v_max3_num_f32 v40, v35, |v20|, |v21|
	s_delay_alu instid0(VALU_DEP_1) | instskip(NEXT) | instid1(VALU_DEP_3)
	v_div_scale_f32 v41, null, 0x42fe0000, 0x42fe0000, v40
	v_mad_nc_u64_u32 v[34:35], s18, v36, v[38:39]
	v_div_scale_f32 v38, vcc_lo, v40, 0x42fe0000, v40
	s_delay_alu instid0(VALU_DEP_3) | instskip(SKIP_1) | instid1(TRANS32_DEP_1)
	v_rcp_f32_e32 v42, v41
	v_nop
	v_fma_f32 v37, -v41, v42, 1.0
	s_delay_alu instid0(VALU_DEP_4) | instskip(SKIP_1) | instid1(VALU_DEP_3)
	v_mad_u32 v43, s19, v36, v35
	v_mov_b32_e32 v35, v1
	v_fmac_f32_e32 v42, v37, v42
	s_delay_alu instid0(VALU_DEP_2) | instskip(NEXT) | instid1(VALU_DEP_2)
	v_mul_u64_e32 v[36:37], s[0:1], v[34:35]
	v_mul_f32_e32 v39, v38, v42
	s_delay_alu instid0(VALU_DEP_1) | instskip(NEXT) | instid1(VALU_DEP_1)
	v_fma_f32 v44, -v41, v39, v38
	v_fmac_f32_e32 v39, v44, v42
	s_delay_alu instid0(VALU_DEP_1) | instskip(SKIP_1) | instid1(VALU_DEP_2)
	v_fma_f32 v35, -v41, v39, v38
	v_mov_b32_e32 v38, v37
	v_div_fmas_f32 v35, v35, v42, v39
	v_mov_b32_e32 v39, v1
	s_delay_alu instid0(VALU_DEP_2) | instskip(NEXT) | instid1(VALU_DEP_2)
	v_div_fixup_f32 v40, v35, 0x42fe0000, v40
	v_mad_nc_u64_u32 v[36:37], 0xf0f0f0f1, v43, v[38:39]
	s_delay_alu instid0(VALU_DEP_2) | instskip(SKIP_1) | instid1(VALU_DEP_2)
	v_div_scale_f32 v41, null, v40, v40, 1.0
	v_div_scale_f32 v39, vcc_lo, 1.0, v40, 1.0
	v_rcp_f32_e32 v42, v41
	s_delay_alu instid0(VALU_DEP_3) | instskip(NEXT) | instid1(TRANS32_DEP_1)
	v_dual_mov_b32 v38, v37 :: v_dual_mov_b32 v37, v1
	v_fma_f32 v35, -v41, v42, 1.0
	s_delay_alu instid0(VALU_DEP_1) | instskip(NEXT) | instid1(VALU_DEP_1)
	v_fmac_f32_e32 v42, v35, v42
	v_mul_f32_e32 v44, v39, v42
	s_delay_alu instid0(VALU_DEP_1) | instskip(NEXT) | instid1(VALU_DEP_1)
	v_fma_f32 v35, -v41, v44, v39
	v_fmac_f32_e32 v44, v35, v42
	v_mad_nc_u64_u32 v[34:35], 0xf0f0f0f0, v34, v[36:37]
	s_delay_alu instid0(VALU_DEP_1) | instskip(SKIP_1) | instid1(VALU_DEP_2)
	v_dual_mov_b32 v36, v35 :: v_dual_fma_f32 v34, -v41, v44, v39
	v_dual_mov_b32 v39, v1 :: v_dual_lshrrev_b32 v35, 5, v0
	v_div_fmas_f32 v34, v34, v42, v44
	v_cmp_neq_f32_e32 vcc_lo, 0, v40
	s_delay_alu instid0(VALU_DEP_3) | instskip(NEXT) | instid1(VALU_DEP_3)
	v_add_nc_u64_e32 v[36:37], v[38:39], v[36:37]
	v_div_fixup_f32 v1, v34, v40, 1.0
	v_cvt_f16_f32_e32 v34, v40
	s_delay_alu instid0(VALU_DEP_3) | instskip(NEXT) | instid1(VALU_DEP_3)
	v_mad_nc_u64_u32 v[36:37], 0xf0f0f0f0, v43, v[36:37]
	v_cndmask_b32_e32 v38, 0, v1, vcc_lo
	s_delay_alu instid0(VALU_DEP_1)
	v_pk_mul_f32 v[42:43], v[12:13], v[38:39] op_sel_hi:[1,0]
	v_pk_mul_f32 v[0:1], v[18:19], v[38:39] op_sel_hi:[1,0]
	;; [unrolled: 1-line block ×5, first 2 shown]
	v_trunc_f32_e32 v19, v42
	v_lshrrev_b32_e32 v18, 5, v37
	v_trunc_f32_e32 v20, v43
	v_trunc_f32_e32 v21, v40
	v_pk_mul_f32 v[24:25], v[24:25], v[38:39] op_sel_hi:[1,0]
	v_sub_f32_e32 v69, v42, v19
	v_pk_mul_f32 v[10:11], v[26:27], v[38:39] op_sel_hi:[1,0]
	s_delay_alu instid0(VALU_DEP_4) | instskip(SKIP_1) | instid1(VALU_DEP_4)
	v_dual_sub_f32 v70, v43, v20 :: v_dual_sub_f32 v71, v40, v21
	v_trunc_f32_e32 v26, v41
	v_cmp_ge_f32_e64 s0, |v69|, 0.5
	v_trunc_f32_e32 v27, v24
	v_pk_mul_f32 v[22:23], v[22:23], v[38:39] op_sel_hi:[1,0]
	v_pk_mul_f32 v[12:13], v[28:29], v[38:39] op_sel_hi:[1,0]
	v_sub_f32_e32 v72, v41, v26
	v_cndmask_b32_e64 v69, 0, 1.0, s0
	v_cmp_ge_f32_e64 s0, |v70|, 0.5
	v_trunc_f32_e32 v28, v25
	v_sub_f32_e32 v73, v24, v27
	v_trunc_f32_e32 v29, v22
	v_pk_mul_f32 v[46:47], v[8:9], v[38:39] op_sel_hi:[1,0]
	v_cndmask_b32_e64 v70, 0, 1.0, s0
	v_cmp_ge_f32_e64 s0, |v71|, 0.5
	s_delay_alu instid0(VALU_DEP_4) | instskip(SKIP_2) | instid1(VALU_DEP_4)
	v_dual_sub_f32 v74, v25, v28 :: v_dual_sub_f32 v75, v22, v29
	v_pk_mul_f32 v[8:9], v[2:3], v[38:39] op_sel_hi:[1,0]
	v_alignbit_b32 v2, v37, v36, 5
	v_cndmask_b32_e64 v71, 0, 1.0, s0
	v_cmp_ge_f32_e64 s0, |v72|, 0.5
	v_trunc_f32_e32 v36, v23
	v_trunc_f32_e32 v37, v46
	v_bfi_b32 v42, 0x7fffffff, v69, v42
	v_pk_mul_f32 v[30:31], v[30:31], v[38:39] op_sel_hi:[1,0]
	v_cndmask_b32_e64 v72, 0, 1.0, s0
	v_cmp_ge_f32_e64 s0, |v73|, 0.5
	v_sub_f32_e32 v69, v23, v36
	v_pk_mul_f32 v[32:33], v[32:33], v[38:39] op_sel_hi:[1,0]
	v_pk_mul_f32 v[14:15], v[14:15], v[38:39] op_sel_hi:[1,0]
	;; [unrolled: 1-line block ×3, first 2 shown]
	v_cndmask_b32_e64 v73, 0, 1.0, s0
	v_cmp_ge_f32_e64 s0, |v74|, 0.5
	v_pk_mul_f32 v[4:5], v[4:5], v[38:39] op_sel_hi:[1,0]
	v_trunc_f32_e32 v38, v47
	v_bfi_b32 v43, 0x7fffffff, v70, v43
	v_sub_f32_e32 v70, v46, v37
	v_cndmask_b32_e64 v74, 0, 1.0, s0
	v_cmp_ge_f32_e64 s0, |v75|, 0.5
	v_trunc_f32_e32 v39, v44
	v_bfi_b32 v40, 0x7fffffff, v71, v40
	v_sub_f32_e32 v71, v47, v38
	v_trunc_f32_e32 v48, v45
	v_cndmask_b32_e64 v75, 0, 1.0, s0
	v_cmp_ge_f32_e64 s0, |v69|, 0.5
	v_bfi_b32 v41, 0x7fffffff, v72, v41
	v_sub_f32_e32 v72, v44, v39
	v_trunc_f32_e32 v49, v32
	v_bfi_b32 v24, 0x7fffffff, v73, v24
	v_cndmask_b32_e64 v69, 0, 1.0, s0
	v_cmp_ge_f32_e64 s0, |v70|, 0.5
	v_sub_f32_e32 v73, v45, v48
	v_trunc_f32_e32 v50, v33
	v_bfi_b32 v25, 0x7fffffff, v74, v25
	v_sub_f32_e32 v74, v32, v49
	v_cndmask_b32_e64 v70, 0, 1.0, s0
	v_cmp_ge_f32_e64 s0, |v71|, 0.5
	v_trunc_f32_e32 v51, v30
	v_bfi_b32 v23, 0x7fffffff, v69, v23
	v_sub_f32_e32 v69, v33, v50
	v_trunc_f32_e32 v52, v31
	v_cndmask_b32_e64 v71, 0, 1.0, s0
	v_cmp_ge_f32_e64 s0, |v72|, 0.5
	v_bfi_b32 v22, 0x7fffffff, v75, v22
	v_sub_f32_e32 v75, v30, v51
	v_trunc_f32_e32 v53, v16
	v_bfi_b32 v46, 0x7fffffff, v70, v46
	v_cndmask_b32_e64 v72, 0, 1.0, s0
	v_cmp_ge_f32_e64 s0, |v73|, 0.5
	v_sub_f32_e32 v70, v31, v52
	v_trunc_f32_e32 v54, v17
	v_bfi_b32 v47, 0x7fffffff, v71, v47
	v_sub_f32_e32 v71, v16, v53
	v_cndmask_b32_e64 v73, 0, 1.0, s0
	v_cmp_ge_f32_e64 s0, |v74|, 0.5
	v_trunc_f32_e32 v55, v14
	v_bfi_b32 v44, 0x7fffffff, v72, v44
	v_sub_f32_e32 v72, v17, v54
	v_trunc_f32_e32 v56, v15
	v_cndmask_b32_e64 v74, 0, 1.0, s0
	v_cmp_ge_f32_e64 s0, |v69|, 0.5
	v_bfi_b32 v45, 0x7fffffff, v73, v45
	v_sub_f32_e32 v73, v14, v55
	v_trunc_f32_e32 v57, v12
	v_trunc_f32_e32 v58, v13
	v_cndmask_b32_e64 v69, 0, 1.0, s0
	v_cmp_ge_f32_e64 s0, |v75|, 0.5
	v_bfi_b32 v32, 0x7fffffff, v74, v32
	v_sub_f32_e32 v74, v12, v57
	v_trunc_f32_e32 v59, v10
	v_bfi_b32 v33, 0x7fffffff, v69, v33
	v_cndmask_b32_e64 v75, 0, 1.0, s0
	v_cmp_ge_f32_e64 s0, |v70|, 0.5
	v_sub_f32_e32 v69, v15, v56
	v_trunc_f32_e32 v60, v11
	v_trunc_f32_e32 v61, v4
	v_bfi_b32 v30, 0x7fffffff, v75, v30
	v_cndmask_b32_e64 v70, 0, 1.0, s0
	v_cmp_ge_f32_e64 s0, |v71|, 0.5
	v_sub_f32_e32 v75, v10, v59
	v_trunc_f32_e32 v62, v5
	;; [unrolled: 6-line block ×4, first 2 shown]
	v_mad_nc_u64_u32 v[2:3], v2, 34, s[2:3]
	v_bfi_b32 v17, 0x7fffffff, v72, v17
	v_cndmask_b32_e64 v73, 0, 1.0, s0
	v_cmp_ge_f32_e64 s0, |v69|, 0.5
	v_sub_f32_e32 v72, v4, v61
	v_trunc_f32_e32 v67, v0
	v_trunc_f32_e32 v68, v1
	v_bfi_b32 v14, 0x7fffffff, v73, v14
	v_cndmask_b32_e64 v69, 0, 1.0, s0
	v_cmp_ge_f32_e64 s0, |v74|, 0.5
	v_sub_f32_e32 v73, v8, v63
	v_mad_u32 v3, v18, 34, v3
	v_sub_f32_e32 v18, v1, v68
	v_bfi_b32 v15, 0x7fffffff, v69, v15
	v_cndmask_b32_e64 v74, 0, 1.0, s0
	v_cmp_ge_f32_e64 s0, |v70|, 0.5
	v_dual_sub_f32 v69, v5, v62 :: v_dual_add_f32 v25, v28, v25
	v_add_f32_e32 v22, v29, v22
	s_delay_alu instid0(VALU_DEP_4) | instskip(NEXT) | instid1(VALU_DEP_4)
	v_bfi_b32 v12, 0x7fffffff, v74, v12
	v_cndmask_b32_e64 v70, 0, 1.0, s0
	v_cmp_ge_f32_e64 s0, |v75|, 0.5
	v_dual_sub_f32 v74, v6, v65 :: v_dual_add_f32 v23, v36, v23
	v_dual_add_f32 v29, v48, v45 :: v_dual_add_f32 v32, v49, v32
	s_delay_alu instid0(VALU_DEP_3) | instskip(SKIP_4) | instid1(VALU_DEP_4)
	v_cndmask_b32_e64 v75, 0, 1.0, s0
	v_cmp_ge_f32_e64 s0, |v71|, 0.5
	v_bfi_b32 v13, 0x7fffffff, v70, v13
	v_dual_sub_f32 v70, v9, v64 :: v_dual_add_f32 v33, v50, v33
	v_add_f32_e32 v30, v51, v30
	v_cndmask_b32_e64 v71, 0, 1.0, s0
	v_cmp_ge_f32_e64 s0, |v72|, 0.5
	v_bfi_b32 v10, 0x7fffffff, v75, v10
	v_sub_f32_e32 v75, v0, v67
	v_dual_add_f32 v31, v52, v31 :: v_dual_add_f32 v16, v53, v16
	s_delay_alu instid0(VALU_DEP_4) | instskip(SKIP_4) | instid1(VALU_DEP_4)
	v_cndmask_b32_e64 v72, 0, 1.0, s0
	v_cmp_ge_f32_e64 s0, |v69|, 0.5
	v_bfi_b32 v11, 0x7fffffff, v71, v11
	v_dual_sub_f32 v71, v7, v66 :: v_dual_add_f32 v17, v54, v17
	v_add_f32_e32 v14, v55, v14
	v_cndmask_b32_e64 v69, 0, 1.0, s0
	v_cmp_ge_f32_e64 s0, |v73|, 0.5
	v_bfi_b32 v4, 0x7fffffff, v72, v4
	v_dual_add_f32 v15, v56, v15 :: v_dual_add_f32 v12, v57, v12
	s_delay_alu instid0(VALU_DEP_4) | instskip(NEXT) | instid1(VALU_DEP_4)
	v_bfi_b32 v5, 0x7fffffff, v69, v5
	v_cndmask_b32_e64 v73, 0, 1.0, s0
	v_cmp_ge_f32_e64 s0, |v70|, 0.5
	v_dual_add_f32 v24, v27, v24 :: v_dual_add_f32 v27, v38, v47
	v_add_f32_e32 v28, v39, v44
	s_delay_alu instid0(VALU_DEP_4) | instskip(NEXT) | instid1(VALU_DEP_4)
	v_bfi_b32 v8, 0x7fffffff, v73, v8
	v_cndmask_b32_e64 v70, 0, 1.0, s0
	v_cmp_ge_f32_e64 s0, |v74|, 0.5
	v_add_f32_e32 v5, v62, v5
	v_dual_add_f32 v13, v58, v13 :: v_dual_add_f32 v10, v59, v10
	s_delay_alu instid0(VALU_DEP_4) | instskip(NEXT) | instid1(VALU_DEP_4)
	v_bfi_b32 v9, 0x7fffffff, v70, v9
	v_cndmask_b32_e64 v74, 0, 1.0, s0
	v_cmp_ge_f32_e64 s0, |v71|, 0.5
	v_dual_add_f32 v36, v63, v8 :: v_dual_add_f32 v11, v60, v11
	v_add_f32_e32 v4, v61, v4
	s_delay_alu instid0(VALU_DEP_4) | instskip(NEXT) | instid1(VALU_DEP_4)
	v_bfi_b32 v6, 0x7fffffff, v74, v6
	v_cndmask_b32_e64 v71, 0, 1.0, s0
	v_cmp_ge_f32_e64 s0, |v75|, 0.5
	v_cvt_i32_f32_e32 v29, v29
	v_cvt_i32_f32_e32 v27, v27
	v_add_f32_e32 v6, v65, v6
	v_bfi_b32 v7, 0x7fffffff, v71, v7
	v_cndmask_b32_e64 v75, 0, 1.0, s0
	v_cmp_ge_f32_e64 s0, |v18|, 0.5
	v_cvt_i32_f32_e32 v11, v11
	v_cvt_i32_f32_e32 v13, v13
	;; [unrolled: 1-line block ×3, first 2 shown]
	v_bfi_b32 v0, 0x7fffffff, v75, v0
	v_cndmask_b32_e64 v18, 0, 1.0, s0
	v_add_f32_e32 v7, v66, v7
	v_cvt_i32_f32_e32 v17, v17
	v_cvt_i32_f32_e32 v5, v5
	v_add_f32_e32 v0, v67, v0
	v_bfi_b32 v1, 0x7fffffff, v18, v1
	v_dual_add_f32 v18, v19, v42 :: v_dual_add_f32 v19, v20, v43
	v_dual_add_f32 v20, v21, v40 :: v_dual_add_f32 v21, v26, v41
	v_dual_add_f32 v26, v37, v46 :: v_dual_add_f32 v37, v64, v9
	v_mad_nc_u64_u32 v[8:9], v35, 34, v[2:3]
	v_cvt_i32_f32_e32 v2, v23
	v_cvt_i32_f32_e32 v3, v22
	v_cvt_i32_f32_e32 v22, v25
	v_cvt_i32_f32_e32 v23, v24
	v_cvt_i32_f32_e32 v21, v21
	v_lshlrev_b16 v2, 8, v2
	v_cvt_i32_f32_e32 v19, v19
	v_lshlrev_b16 v22, 8, v22
	v_cvt_i32_f32_e32 v24, v31
	v_cvt_i32_f32_e32 v25, v30
	v_bitop3_b16 v2, v3, v2, 0xff bitop3:0xec
	v_cvt_i32_f32_e32 v30, v33
	v_bitop3_b16 v3, v23, v22, 0xff bitop3:0xec
	v_add_f32_e32 v1, v68, v1
	v_cvt_i32_f32_e32 v31, v32
	v_cvt_i32_f32_e32 v7, v7
	v_cvt_i32_f32_e32 v32, v37
	v_lshlrev_b32_e32 v3, 16, v3
	v_cvt_i32_f32_e32 v1, v1
	v_cvt_i32_f32_e32 v20, v20
	;; [unrolled: 1-line block ×5, first 2 shown]
	v_lshlrev_b16 v21, 8, v21
	v_lshlrev_b16 v19, 8, v19
	;; [unrolled: 1-line block ×6, first 2 shown]
	v_cvt_i32_f32_e32 v10, v10
	v_cvt_i32_f32_e32 v12, v12
	;; [unrolled: 1-line block ×8, first 2 shown]
	v_lshlrev_b16 v11, 8, v11
	v_lshlrev_b16 v13, 8, v13
	;; [unrolled: 1-line block ×8, first 2 shown]
	v_bitop3_b16 v20, v20, v21, 0xff bitop3:0xec
	v_bitop3_b16 v18, v18, v19, 0xff bitop3:0xec
	;; [unrolled: 1-line block ×14, first 2 shown]
	v_and_b32_e32 v2, 0xffff, v2
	v_and_b32_e32 v5, 0xffff, v20
	v_dual_lshlrev_b32 v7, 16, v18 :: v_dual_lshlrev_b32 v15, 16, v21
	v_and_b32_e32 v14, 0xffff, v19
	v_and_b32_e32 v16, 0xffff, v22
	v_dual_lshlrev_b32 v17, 16, v23 :: v_dual_lshlrev_b32 v13, 16, v13
	v_and_b32_e32 v10, 0xffff, v10
	v_dual_lshlrev_b32 v11, 16, v11 :: v_dual_lshlrev_b32 v19, 16, v1
	v_and_b32_e32 v12, 0xffff, v12
	v_and_b32_e32 v18, 0xffff, v0
	;; [unrolled: 1-line block ×3, first 2 shown]
	v_dual_lshlrev_b32 v20, 16, v4 :: v_dual_bitop2_b32 v1, v2, v3 bitop3:0x54
	v_or_b32_e32 v0, v5, v7
	v_or_b32_e32 v3, v14, v15
	;; [unrolled: 1-line block ×7, first 2 shown]
	s_clause 0x2
	global_store_b16 v[8:9], v34, off
	global_store_b128 v[8:9], v[0:3], off offset:2
	global_store_b128 v[8:9], v[4:7], off offset:18
.LBB7_2:
	s_sendmsg sendmsg(MSG_DEALLOC_VGPRS)
	s_endpgm
	.section	.rodata,"a",@progbits
	.p2align	6, 0x0
	.amdhsa_kernel _ZL16k_set_rows_quantIl10block_q8_0Li32ETnPFvPKfPT0_EXadL_ZL23quantize_f32_q8_0_blockS2_PS0_EEEvS2_PKT_S4_llllllllllllll15HIP_vector_typeIjLj3EESC_SC_SC_SC_
		.amdhsa_group_segment_fixed_size 0
		.amdhsa_private_segment_fixed_size 0
		.amdhsa_kernarg_size 456
		.amdhsa_user_sgpr_count 2
		.amdhsa_user_sgpr_dispatch_ptr 0
		.amdhsa_user_sgpr_queue_ptr 0
		.amdhsa_user_sgpr_kernarg_segment_ptr 1
		.amdhsa_user_sgpr_dispatch_id 0
		.amdhsa_user_sgpr_kernarg_preload_length 0
		.amdhsa_user_sgpr_kernarg_preload_offset 0
		.amdhsa_user_sgpr_private_segment_size 0
		.amdhsa_wavefront_size32 1
		.amdhsa_uses_dynamic_stack 0
		.amdhsa_enable_private_segment 0
		.amdhsa_system_sgpr_workgroup_id_x 1
		.amdhsa_system_sgpr_workgroup_id_y 0
		.amdhsa_system_sgpr_workgroup_id_z 0
		.amdhsa_system_sgpr_workgroup_info 0
		.amdhsa_system_vgpr_workitem_id 0
		.amdhsa_next_free_vgpr 76
		.amdhsa_next_free_sgpr 32
		.amdhsa_named_barrier_count 0
		.amdhsa_reserve_vcc 1
		.amdhsa_float_round_mode_32 0
		.amdhsa_float_round_mode_16_64 0
		.amdhsa_float_denorm_mode_32 3
		.amdhsa_float_denorm_mode_16_64 3
		.amdhsa_fp16_overflow 0
		.amdhsa_memory_ordered 1
		.amdhsa_forward_progress 1
		.amdhsa_inst_pref_size 26
		.amdhsa_round_robin_scheduling 0
		.amdhsa_exception_fp_ieee_invalid_op 0
		.amdhsa_exception_fp_denorm_src 0
		.amdhsa_exception_fp_ieee_div_zero 0
		.amdhsa_exception_fp_ieee_overflow 0
		.amdhsa_exception_fp_ieee_underflow 0
		.amdhsa_exception_fp_ieee_inexact 0
		.amdhsa_exception_int_div_zero 0
	.end_amdhsa_kernel
	.section	.text._ZL16k_set_rows_quantIl10block_q8_0Li32ETnPFvPKfPT0_EXadL_ZL23quantize_f32_q8_0_blockS2_PS0_EEEvS2_PKT_S4_llllllllllllll15HIP_vector_typeIjLj3EESC_SC_SC_SC_,"axG",@progbits,_ZL16k_set_rows_quantIl10block_q8_0Li32ETnPFvPKfPT0_EXadL_ZL23quantize_f32_q8_0_blockS2_PS0_EEEvS2_PKT_S4_llllllllllllll15HIP_vector_typeIjLj3EESC_SC_SC_SC_,comdat
.Lfunc_end7:
	.size	_ZL16k_set_rows_quantIl10block_q8_0Li32ETnPFvPKfPT0_EXadL_ZL23quantize_f32_q8_0_blockS2_PS0_EEEvS2_PKT_S4_llllllllllllll15HIP_vector_typeIjLj3EESC_SC_SC_SC_, .Lfunc_end7-_ZL16k_set_rows_quantIl10block_q8_0Li32ETnPFvPKfPT0_EXadL_ZL23quantize_f32_q8_0_blockS2_PS0_EEEvS2_PKT_S4_llllllllllllll15HIP_vector_typeIjLj3EESC_SC_SC_SC_
                                        ; -- End function
	.set _ZL16k_set_rows_quantIl10block_q8_0Li32ETnPFvPKfPT0_EXadL_ZL23quantize_f32_q8_0_blockS2_PS0_EEEvS2_PKT_S4_llllllllllllll15HIP_vector_typeIjLj3EESC_SC_SC_SC_.num_vgpr, 76
	.set _ZL16k_set_rows_quantIl10block_q8_0Li32ETnPFvPKfPT0_EXadL_ZL23quantize_f32_q8_0_blockS2_PS0_EEEvS2_PKT_S4_llllllllllllll15HIP_vector_typeIjLj3EESC_SC_SC_SC_.num_agpr, 0
	.set _ZL16k_set_rows_quantIl10block_q8_0Li32ETnPFvPKfPT0_EXadL_ZL23quantize_f32_q8_0_blockS2_PS0_EEEvS2_PKT_S4_llllllllllllll15HIP_vector_typeIjLj3EESC_SC_SC_SC_.numbered_sgpr, 32
	.set _ZL16k_set_rows_quantIl10block_q8_0Li32ETnPFvPKfPT0_EXadL_ZL23quantize_f32_q8_0_blockS2_PS0_EEEvS2_PKT_S4_llllllllllllll15HIP_vector_typeIjLj3EESC_SC_SC_SC_.num_named_barrier, 0
	.set _ZL16k_set_rows_quantIl10block_q8_0Li32ETnPFvPKfPT0_EXadL_ZL23quantize_f32_q8_0_blockS2_PS0_EEEvS2_PKT_S4_llllllllllllll15HIP_vector_typeIjLj3EESC_SC_SC_SC_.private_seg_size, 0
	.set _ZL16k_set_rows_quantIl10block_q8_0Li32ETnPFvPKfPT0_EXadL_ZL23quantize_f32_q8_0_blockS2_PS0_EEEvS2_PKT_S4_llllllllllllll15HIP_vector_typeIjLj3EESC_SC_SC_SC_.uses_vcc, 1
	.set _ZL16k_set_rows_quantIl10block_q8_0Li32ETnPFvPKfPT0_EXadL_ZL23quantize_f32_q8_0_blockS2_PS0_EEEvS2_PKT_S4_llllllllllllll15HIP_vector_typeIjLj3EESC_SC_SC_SC_.uses_flat_scratch, 0
	.set _ZL16k_set_rows_quantIl10block_q8_0Li32ETnPFvPKfPT0_EXadL_ZL23quantize_f32_q8_0_blockS2_PS0_EEEvS2_PKT_S4_llllllllllllll15HIP_vector_typeIjLj3EESC_SC_SC_SC_.has_dyn_sized_stack, 0
	.set _ZL16k_set_rows_quantIl10block_q8_0Li32ETnPFvPKfPT0_EXadL_ZL23quantize_f32_q8_0_blockS2_PS0_EEEvS2_PKT_S4_llllllllllllll15HIP_vector_typeIjLj3EESC_SC_SC_SC_.has_recursion, 0
	.set _ZL16k_set_rows_quantIl10block_q8_0Li32ETnPFvPKfPT0_EXadL_ZL23quantize_f32_q8_0_blockS2_PS0_EEEvS2_PKT_S4_llllllllllllll15HIP_vector_typeIjLj3EESC_SC_SC_SC_.has_indirect_call, 0
	.section	.AMDGPU.csdata,"",@progbits
; Kernel info:
; codeLenInByte = 3276
; TotalNumSgprs: 34
; NumVgprs: 76
; ScratchSize: 0
; MemoryBound: 0
; FloatMode: 240
; IeeeMode: 1
; LDSByteSize: 0 bytes/workgroup (compile time only)
; SGPRBlocks: 0
; VGPRBlocks: 4
; NumSGPRsForWavesPerEU: 34
; NumVGPRsForWavesPerEU: 76
; NamedBarCnt: 0
; Occupancy: 12
; WaveLimiterHint : 1
; COMPUTE_PGM_RSRC2:SCRATCH_EN: 0
; COMPUTE_PGM_RSRC2:USER_SGPR: 2
; COMPUTE_PGM_RSRC2:TRAP_HANDLER: 0
; COMPUTE_PGM_RSRC2:TGID_X_EN: 1
; COMPUTE_PGM_RSRC2:TGID_Y_EN: 0
; COMPUTE_PGM_RSRC2:TGID_Z_EN: 0
; COMPUTE_PGM_RSRC2:TIDIG_COMP_CNT: 0
	.section	.text._ZL16k_set_rows_quantIl12block_iq4_nlLi32ETnPFvPKfPT0_EXadL_ZL25quantize_f32_iq4_nl_blockS2_PS0_EEEvS2_PKT_S4_llllllllllllll15HIP_vector_typeIjLj3EESC_SC_SC_SC_,"axG",@progbits,_ZL16k_set_rows_quantIl12block_iq4_nlLi32ETnPFvPKfPT0_EXadL_ZL25quantize_f32_iq4_nl_blockS2_PS0_EEEvS2_PKT_S4_llllllllllllll15HIP_vector_typeIjLj3EESC_SC_SC_SC_,comdat
	.globl	_ZL16k_set_rows_quantIl12block_iq4_nlLi32ETnPFvPKfPT0_EXadL_ZL25quantize_f32_iq4_nl_blockS2_PS0_EEEvS2_PKT_S4_llllllllllllll15HIP_vector_typeIjLj3EESC_SC_SC_SC_ ; -- Begin function _ZL16k_set_rows_quantIl12block_iq4_nlLi32ETnPFvPKfPT0_EXadL_ZL25quantize_f32_iq4_nl_blockS2_PS0_EEEvS2_PKT_S4_llllllllllllll15HIP_vector_typeIjLj3EESC_SC_SC_SC_
	.p2align	8
	.type	_ZL16k_set_rows_quantIl12block_iq4_nlLi32ETnPFvPKfPT0_EXadL_ZL25quantize_f32_iq4_nl_blockS2_PS0_EEEvS2_PKT_S4_llllllllllllll15HIP_vector_typeIjLj3EESC_SC_SC_SC_,@function
_ZL16k_set_rows_quantIl12block_iq4_nlLi32ETnPFvPKfPT0_EXadL_ZL25quantize_f32_iq4_nl_blockS2_PS0_EEEvS2_PKT_S4_llllllllllllll15HIP_vector_typeIjLj3EESC_SC_SC_SC_: ; @_ZL16k_set_rows_quantIl12block_iq4_nlLi32ETnPFvPKfPT0_EXadL_ZL25quantize_f32_iq4_nl_blockS2_PS0_EEEvS2_PKT_S4_llllllllllllll15HIP_vector_typeIjLj3EESC_SC_SC_SC_
; %bb.0:
	s_clause 0x1
	s_load_b32 s4, s[0:1], 0xd4
	s_load_b64 s[2:3], s[0:1], 0x18
	s_bfe_u32 s5, ttmp6, 0x4000c
	v_mov_b32_e32 v2, 0
	s_add_co_i32 s5, s5, 1
	s_and_b32 s6, ttmp6, 15
	s_mul_i32 s5, ttmp9, s5
	s_getreg_b32 s7, hwreg(HW_REG_IB_STS2, 6, 4)
	v_mov_b32_e32 v1, v2
	s_add_co_i32 s6, s6, s5
	s_wait_kmcnt 0x0
	s_and_b32 s4, s4, 0xffff
	s_cmp_eq_u32 s7, 0
	s_cselect_b32 s5, ttmp9, s6
	s_delay_alu instid0(SALU_CYCLE_1) | instskip(NEXT) | instid1(VALU_DEP_1)
	v_mad_nc_u64_u32 v[0:1], s4, s5, v[0:1]
	v_cmp_gt_i64_e32 vcc_lo, s[2:3], v[0:1]
	s_mov_b32 s3, 0
	s_and_saveexec_b32 s2, vcc_lo
	s_cbranch_execz .LBB8_16
; %bb.1:
	s_load_b256 s[20:27], s[0:1], 0x88
	v_lshlrev_b32_e32 v3, 5, v0
	s_clause 0x1
	s_load_b128 s[28:31], s[0:1], 0xa8
	s_load_b512 s[4:19], s[0:1], 0x40
	v_dual_mov_b32 v33, v2 :: v_dual_mov_b32 v35, v2
	s_mov_b32 s2, s3
	v_dual_mov_b32 v11, v2 :: v_dual_mov_b32 v7, v2
	v_mov_b32_e32 v9, v2
	s_wait_kmcnt 0x0
	v_mul_hi_u32 v0, s20, v3
	s_delay_alu instid0(VALU_DEP_1) | instskip(NEXT) | instid1(VALU_DEP_1)
	v_add_nc_u32_e32 v0, v3, v0
	v_lshrrev_b32_e32 v14, s21, v0
	s_delay_alu instid0(VALU_DEP_1) | instskip(NEXT) | instid1(VALU_DEP_1)
	v_mul_hi_u32 v0, v14, s23
	v_add_nc_u32_e32 v0, v14, v0
	s_delay_alu instid0(VALU_DEP_1) | instskip(NEXT) | instid1(VALU_DEP_1)
	v_lshrrev_b32_e32 v4, s24, v0
	v_mul_hi_u32 v0, v4, s26
	s_delay_alu instid0(VALU_DEP_1) | instskip(NEXT) | instid1(VALU_DEP_1)
	v_add_nc_u32_e32 v0, v4, v0
	v_lshrrev_b32_e32 v8, s27, v0
	v_mul_lo_u32 v1, v4, s25
	s_delay_alu instid0(VALU_DEP_2) | instskip(SKIP_2) | instid1(VALU_DEP_3)
	v_mul_lo_u32 v5, v8, s28
	v_mul_u64_e32 v[12:13], s[8:9], v[8:9]
	s_load_b64 s[8:9], s[0:1], 0x10
	v_sub_nc_u32_e32 v10, v14, v1
	s_delay_alu instid0(VALU_DEP_3) | instskip(NEXT) | instid1(VALU_DEP_2)
	v_sub_nc_u32_e32 v6, v4, v5
	v_mul_u64_e32 v[0:1], s[4:5], v[10:11]
	v_mul_u64_e32 v[10:11], s[10:11], v[10:11]
	s_delay_alu instid0(VALU_DEP_3) | instskip(SKIP_4) | instid1(VALU_DEP_4)
	v_mul_u64_e32 v[4:5], s[6:7], v[6:7]
	s_load_b128 s[4:7], s[0:1], 0x0
	v_mul_lo_u32 v7, v14, s22
	s_load_b96 s[20:22], s[0:1], 0xb8
	s_wait_kmcnt 0x0
	v_lshl_add_u64 v[0:1], v[0:1], 2, s[4:5]
	s_delay_alu instid0(VALU_DEP_4) | instskip(SKIP_1) | instid1(VALU_DEP_2)
	v_lshl_add_u64 v[10:11], v[10:11], 3, s[6:7]
	s_load_b64 s[0:1], s[0:1], 0x80
	v_lshl_add_u64 v[0:1], v[4:5], 2, v[0:1]
	s_delay_alu instid0(VALU_DEP_4) | instskip(SKIP_1) | instid1(VALU_DEP_3)
	v_dual_mov_b32 v5, v2 :: v_dual_sub_nc_u32 v4, v3, v7
	v_mul_hi_u32 v3, v6, s29
	v_lshl_add_u64 v[0:1], v[12:13], 2, v[0:1]
	s_delay_alu instid0(VALU_DEP_1)
	v_lshl_add_u64 v[0:1], v[4:5], 2, v[0:1]
	v_mul_hi_u32 v5, v8, s20
	s_clause 0x3
	global_load_b128 v[12:15], v[0:1], off
	global_load_b128 v[16:19], v[0:1], off offset:16
	global_load_b128 v[20:23], v[0:1], off offset:32
	;; [unrolled: 1-line block ×3, first 2 shown]
	v_add_nc_u32_e32 v3, v6, v3
	global_load_b128 v[28:31], v[0:1], off offset:64
	v_dual_lshrrev_b32 v4, 5, v4 :: v_dual_add_nc_u32 v5, v8, v5
	s_delay_alu instid0(VALU_DEP_1) | instskip(NEXT) | instid1(VALU_DEP_1)
	v_dual_lshrrev_b32 v3, s30, v3 :: v_dual_lshrrev_b32 v5, s21, v5
	v_mul_lo_u32 v3, v3, s31
	s_delay_alu instid0(VALU_DEP_2) | instskip(NEXT) | instid1(VALU_DEP_1)
	v_mul_lo_u32 v5, v5, s22
	v_dual_sub_nc_u32 v32, v6, v3 :: v_dual_sub_nc_u32 v34, v8, v5
	s_delay_alu instid0(VALU_DEP_1) | instskip(NEXT) | instid1(VALU_DEP_2)
	v_mul_u64_e32 v[36:37], s[12:13], v[32:33]
	v_mul_u64_e32 v[38:39], s[14:15], v[34:35]
	global_load_b128 v[32:35], v[0:1], off offset:80
	v_lshl_add_u64 v[10:11], v[36:37], 3, v[10:11]
	s_delay_alu instid0(VALU_DEP_1)
	v_lshl_add_u64 v[10:11], v[38:39], 3, v[10:11]
	global_load_b64 v[44:45], v[10:11], off
	s_clause 0x1
	global_load_b128 v[36:39], v[0:1], off offset:96
	global_load_b128 v[40:43], v[0:1], off offset:112
	s_wait_loadcnt 0x8
	v_cmp_lg_f32_e32 vcc_lo, 0, v12
	v_cndmask_b32_e64 v5, 0, |v12|, vcc_lo
	v_cndmask_b32_e32 v3, 0, v12, vcc_lo
	s_delay_alu instid0(VALU_DEP_2) | instskip(NEXT) | instid1(VALU_DEP_1)
	v_cmp_lt_f32_e64 vcc_lo, v5, |v13|
	v_cndmask_b32_e64 v5, v5, |v13|, vcc_lo
	s_delay_alu instid0(VALU_DEP_3) | instskip(NEXT) | instid1(VALU_DEP_2)
	v_cndmask_b32_e32 v3, v3, v13, vcc_lo
	v_cmp_lt_f32_e64 vcc_lo, v5, |v14|
	s_delay_alu instid0(VALU_DEP_1) | instskip(SKIP_4) | instid1(VALU_DEP_1)
	v_cndmask_b32_e64 v5, v5, |v14|, vcc_lo
	s_wait_loadcnt 0x2
	s_wait_xcnt 0x2
	v_mul_u64_e32 v[10:11], s[16:17], v[44:45]
	s_wait_kmcnt 0x0
	v_mad_nc_u64_u32 v[10:11], s0, v8, v[10:11]
	s_delay_alu instid0(VALU_DEP_1) | instskip(SKIP_1) | instid1(VALU_DEP_1)
	v_mad_u32 v11, s1, v8, v11
	s_mov_b64 s[0:1], 0x8e38e38f
	v_mad_nc_u64_u32 v[8:9], s18, v6, v[10:11]
	v_dual_mov_b32 v11, v2 :: v_dual_cndmask_b32 v3, v3, v14, vcc_lo
	v_cmp_lt_f32_e64 vcc_lo, v5, |v15|
	s_delay_alu instid0(VALU_DEP_1) | instskip(NEXT) | instid1(VALU_DEP_3)
	v_cndmask_b32_e64 v5, v5, |v15|, vcc_lo
	v_cndmask_b32_e32 v3, v3, v15, vcc_lo
	v_mad_u32 v13, s19, v6, v9
	v_mov_b32_e32 v9, v2
	s_delay_alu instid0(VALU_DEP_4) | instskip(NEXT) | instid1(VALU_DEP_2)
	v_cmp_lt_f32_e64 vcc_lo, v5, |v16|
	v_mul_u64_e32 v[6:7], s[0:1], v[8:9]
	s_delay_alu instid0(VALU_DEP_2) | instskip(SKIP_3) | instid1(VALU_DEP_2)
	v_cndmask_b32_e64 v5, v5, |v16|, vcc_lo
	v_cndmask_b32_e32 v3, v3, v16, vcc_lo
	s_get_pc_i64 s[0:1]
	s_add_nc_u64 s[0:1], s[0:1], _ZL13kvalues_iq4nl@rel64+4
	v_cmp_lt_f32_e64 vcc_lo, v5, |v17|
	s_delay_alu instid0(VALU_DEP_1) | instskip(SKIP_1) | instid1(VALU_DEP_2)
	v_cndmask_b32_e64 v5, v5, |v17|, vcc_lo
	v_cndmask_b32_e32 v3, v3, v17, vcc_lo
	v_cmp_lt_f32_e64 vcc_lo, v5, |v18|
	s_delay_alu instid0(VALU_DEP_1) | instskip(NEXT) | instid1(VALU_DEP_3)
	v_cndmask_b32_e64 v5, v5, |v18|, vcc_lo
	v_cndmask_b32_e32 v3, v3, v18, vcc_lo
	s_delay_alu instid0(VALU_DEP_2) | instskip(NEXT) | instid1(VALU_DEP_1)
	v_cmp_lt_f32_e64 vcc_lo, v5, |v19|
	v_cndmask_b32_e64 v5, v5, |v19|, vcc_lo
	s_delay_alu instid0(VALU_DEP_3) | instskip(SKIP_1) | instid1(VALU_DEP_3)
	v_cndmask_b32_e32 v3, v3, v19, vcc_lo
	v_mov_b32_e32 v10, v7
	v_cmp_lt_f32_e64 vcc_lo, v5, |v20|
	s_delay_alu instid0(VALU_DEP_1) | instskip(NEXT) | instid1(VALU_DEP_4)
	v_cndmask_b32_e64 v5, v5, |v20|, vcc_lo
	v_cndmask_b32_e32 v3, v3, v20, vcc_lo
	s_delay_alu instid0(VALU_DEP_2) | instskip(NEXT) | instid1(VALU_DEP_1)
	v_cmp_lt_f32_e64 vcc_lo, v5, |v21|
	v_cndmask_b32_e64 v5, v5, |v21|, vcc_lo
	s_delay_alu instid0(VALU_DEP_3) | instskip(NEXT) | instid1(VALU_DEP_2)
	v_cndmask_b32_e32 v3, v3, v21, vcc_lo
	v_cmp_lt_f32_e64 vcc_lo, v5, |v22|
	s_delay_alu instid0(VALU_DEP_1) | instskip(NEXT) | instid1(VALU_DEP_3)
	v_cndmask_b32_e64 v5, v5, |v22|, vcc_lo
	v_cndmask_b32_e32 v3, v3, v22, vcc_lo
	s_delay_alu instid0(VALU_DEP_2) | instskip(NEXT) | instid1(VALU_DEP_1)
	v_cmp_lt_f32_e64 vcc_lo, v5, |v23|
	v_cndmask_b32_e64 v5, v5, |v23|, vcc_lo
	s_delay_alu instid0(VALU_DEP_3) | instskip(NEXT) | instid1(VALU_DEP_2)
	v_cndmask_b32_e32 v3, v3, v23, vcc_lo
	v_cmp_lt_f32_e64 vcc_lo, v5, |v24|
	s_delay_alu instid0(VALU_DEP_1) | instskip(NEXT) | instid1(VALU_DEP_3)
	v_cndmask_b32_e64 v5, v5, |v24|, vcc_lo
	v_cndmask_b32_e32 v3, v3, v24, vcc_lo
	s_delay_alu instid0(VALU_DEP_2) | instskip(NEXT) | instid1(VALU_DEP_1)
	v_cmp_lt_f32_e64 vcc_lo, v5, |v25|
	v_cndmask_b32_e64 v5, v5, |v25|, vcc_lo
	s_delay_alu instid0(VALU_DEP_3) | instskip(NEXT) | instid1(VALU_DEP_2)
	v_cndmask_b32_e32 v3, v3, v25, vcc_lo
	v_cmp_lt_f32_e64 vcc_lo, v5, |v26|
	s_delay_alu instid0(VALU_DEP_1) | instskip(NEXT) | instid1(VALU_DEP_3)
	v_cndmask_b32_e64 v5, v5, |v26|, vcc_lo
	v_cndmask_b32_e32 v3, v3, v26, vcc_lo
	s_delay_alu instid0(VALU_DEP_2) | instskip(NEXT) | instid1(VALU_DEP_1)
	v_cmp_lt_f32_e64 vcc_lo, v5, |v27|
	v_cndmask_b32_e64 v5, v5, |v27|, vcc_lo
	s_delay_alu instid0(VALU_DEP_3) | instskip(NEXT) | instid1(VALU_DEP_2)
	v_cndmask_b32_e32 v3, v3, v27, vcc_lo
	v_cmp_lt_f32_e64 vcc_lo, v5, |v28|
	s_delay_alu instid0(VALU_DEP_1) | instskip(NEXT) | instid1(VALU_DEP_3)
	v_cndmask_b32_e64 v5, v5, |v28|, vcc_lo
	v_cndmask_b32_e32 v3, v3, v28, vcc_lo
	s_delay_alu instid0(VALU_DEP_2) | instskip(NEXT) | instid1(VALU_DEP_1)
	v_cmp_lt_f32_e64 vcc_lo, v5, |v29|
	v_cndmask_b32_e64 v5, v5, |v29|, vcc_lo
	s_delay_alu instid0(VALU_DEP_3) | instskip(NEXT) | instid1(VALU_DEP_2)
	v_cndmask_b32_e32 v3, v3, v29, vcc_lo
	v_cmp_lt_f32_e64 vcc_lo, v5, |v30|
	s_delay_alu instid0(VALU_DEP_1) | instskip(NEXT) | instid1(VALU_DEP_3)
	v_cndmask_b32_e64 v5, v5, |v30|, vcc_lo
	v_cndmask_b32_e32 v3, v3, v30, vcc_lo
	s_delay_alu instid0(VALU_DEP_2) | instskip(NEXT) | instid1(VALU_DEP_1)
	v_cmp_lt_f32_e64 vcc_lo, v5, |v31|
	v_cndmask_b32_e64 v5, v5, |v31|, vcc_lo
	s_delay_alu instid0(VALU_DEP_3) | instskip(NEXT) | instid1(VALU_DEP_2)
	v_cndmask_b32_e32 v3, v3, v31, vcc_lo
	v_cmp_lt_f32_e64 vcc_lo, v5, |v32|
	s_delay_alu instid0(VALU_DEP_1) | instskip(NEXT) | instid1(VALU_DEP_3)
	v_cndmask_b32_e64 v5, v5, |v32|, vcc_lo
	v_cndmask_b32_e32 v3, v3, v32, vcc_lo
	s_delay_alu instid0(VALU_DEP_2) | instskip(NEXT) | instid1(VALU_DEP_1)
	v_cmp_lt_f32_e64 vcc_lo, v5, |v33|
	v_cndmask_b32_e64 v5, v5, |v33|, vcc_lo
	s_delay_alu instid0(VALU_DEP_3) | instskip(NEXT) | instid1(VALU_DEP_2)
	v_cndmask_b32_e32 v3, v3, v33, vcc_lo
	v_cmp_lt_f32_e64 vcc_lo, v5, |v34|
	s_delay_alu instid0(VALU_DEP_1) | instskip(NEXT) | instid1(VALU_DEP_3)
	v_cndmask_b32_e64 v5, v5, |v34|, vcc_lo
	v_cndmask_b32_e32 v3, v3, v34, vcc_lo
	s_delay_alu instid0(VALU_DEP_2) | instskip(NEXT) | instid1(VALU_DEP_1)
	v_cmp_lt_f32_e64 vcc_lo, v5, |v35|
	v_cndmask_b32_e64 v5, v5, |v35|, vcc_lo
	s_delay_alu instid0(VALU_DEP_3) | instskip(SKIP_1) | instid1(VALU_DEP_2)
	v_cndmask_b32_e32 v3, v3, v35, vcc_lo
	s_wait_loadcnt 0x1
	v_cmp_lt_f32_e64 vcc_lo, v5, |v36|
	s_delay_alu instid0(VALU_DEP_1) | instskip(NEXT) | instid1(VALU_DEP_3)
	v_cndmask_b32_e64 v5, v5, |v36|, vcc_lo
	v_cndmask_b32_e32 v3, v3, v36, vcc_lo
	s_delay_alu instid0(VALU_DEP_2) | instskip(NEXT) | instid1(VALU_DEP_1)
	v_cmp_lt_f32_e64 vcc_lo, v5, |v37|
	v_cndmask_b32_e64 v5, v5, |v37|, vcc_lo
	s_delay_alu instid0(VALU_DEP_3) | instskip(NEXT) | instid1(VALU_DEP_2)
	v_cndmask_b32_e32 v3, v3, v37, vcc_lo
	v_cmp_lt_f32_e64 vcc_lo, v5, |v38|
	s_delay_alu instid0(VALU_DEP_1) | instskip(NEXT) | instid1(VALU_DEP_3)
	v_cndmask_b32_e64 v5, v5, |v38|, vcc_lo
	v_cndmask_b32_e32 v3, v3, v38, vcc_lo
	s_delay_alu instid0(VALU_DEP_2) | instskip(NEXT) | instid1(VALU_DEP_1)
	v_cmp_lt_f32_e64 vcc_lo, v5, |v39|
	v_cndmask_b32_e64 v5, v5, |v39|, vcc_lo
	s_delay_alu instid0(VALU_DEP_3) | instskip(SKIP_1) | instid1(VALU_DEP_2)
	v_cndmask_b32_e32 v3, v3, v39, vcc_lo
	s_wait_loadcnt 0x0
	v_cmp_lt_f32_e64 vcc_lo, v5, |v40|
	s_delay_alu instid0(VALU_DEP_1) | instskip(NEXT) | instid1(VALU_DEP_3)
	v_cndmask_b32_e64 v5, v5, |v40|, vcc_lo
	v_cndmask_b32_e32 v3, v3, v40, vcc_lo
	s_delay_alu instid0(VALU_DEP_2) | instskip(NEXT) | instid1(VALU_DEP_1)
	v_cmp_lt_f32_e64 vcc_lo, v5, |v41|
	v_cndmask_b32_e64 v5, v5, |v41|, vcc_lo
	s_delay_alu instid0(VALU_DEP_3) | instskip(NEXT) | instid1(VALU_DEP_2)
	v_cndmask_b32_e32 v3, v3, v41, vcc_lo
	v_cmp_lt_f32_e64 vcc_lo, v5, |v42|
	s_delay_alu instid0(VALU_DEP_1) | instskip(NEXT) | instid1(VALU_DEP_3)
	v_cndmask_b32_e64 v5, v5, |v42|, vcc_lo
	v_cndmask_b32_e32 v3, v3, v42, vcc_lo
	s_delay_alu instid0(VALU_DEP_2) | instskip(NEXT) | instid1(VALU_DEP_2)
	v_cmp_lt_f32_e64 vcc_lo, v5, |v43|
	v_cndmask_b32_e32 v3, v3, v43, vcc_lo
	s_delay_alu instid0(VALU_DEP_1) | instskip(SKIP_1) | instid1(VALU_DEP_2)
	v_div_scale_f32 v5, null, 0xc2fe0000, 0xc2fe0000, v3
	v_div_scale_f32 v12, vcc_lo, v3, 0xc2fe0000, v3
	v_rcp_f32_e32 v9, v5
	v_nop
	s_delay_alu instid0(TRANS32_DEP_1) | instskip(NEXT) | instid1(VALU_DEP_1)
	v_fma_f32 v6, -v5, v9, 1.0
	v_fmac_f32_e32 v9, v6, v9
	v_mad_nc_u64_u32 v[6:7], 0x8e38e38f, v13, v[10:11]
	s_delay_alu instid0(VALU_DEP_2) | instskip(NEXT) | instid1(VALU_DEP_1)
	v_mul_f32_e32 v11, v12, v9
	v_dual_fma_f32 v14, -v5, v11, v12 :: v_dual_mov_b32 v10, v7
	v_mov_b32_e32 v7, v2
	s_delay_alu instid0(VALU_DEP_2) | instskip(NEXT) | instid1(VALU_DEP_2)
	v_fmac_f32_e32 v11, v14, v9
	v_mad_nc_u64_u32 v[6:7], 0xe38e38e3, v8, v[6:7]
	s_delay_alu instid0(VALU_DEP_2) | instskip(NEXT) | instid1(VALU_DEP_1)
	v_fma_f32 v5, -v5, v11, v12
	v_div_fmas_f32 v5, v5, v9, v11
	v_dual_mov_b32 v11, v2 :: v_dual_mov_b32 v9, v2
	s_delay_alu instid0(VALU_DEP_4) | instskip(NEXT) | instid1(VALU_DEP_3)
	v_mov_b32_e32 v8, v7
	v_div_fixup_f32 v12, v5, 0xc2fe0000, v3
	s_delay_alu instid0(VALU_DEP_2) | instskip(NEXT) | instid1(VALU_DEP_2)
	v_add_nc_u64_e32 v[6:7], v[10:11], v[8:9]
	v_div_scale_f32 v3, null, v12, v12, 1.0
	v_div_scale_f32 v10, vcc_lo, 1.0, v12, 1.0
	s_delay_alu instid0(VALU_DEP_2) | instskip(NEXT) | instid1(VALU_DEP_3)
	v_rcp_f32_e32 v5, v3
	v_mad_nc_u64_u32 v[6:7], 0xe38e38e3, v13, v[6:7]
	s_delay_alu instid0(TRANS32_DEP_1) | instskip(NEXT) | instid1(VALU_DEP_1)
	v_fma_f32 v8, -v3, v5, 1.0
	v_fmac_f32_e32 v5, v8, v5
	s_delay_alu instid0(VALU_DEP_3) | instskip(NEXT) | instid1(VALU_DEP_2)
	v_alignbit_b32 v6, v7, v6, 4
	v_dual_lshrrev_b32 v7, 4, v7 :: v_dual_mul_f32 v11, v10, v5
	s_delay_alu instid0(VALU_DEP_2) | instskip(NEXT) | instid1(VALU_DEP_2)
	v_mad_nc_u64_u32 v[8:9], v6, 18, s[8:9]
	v_fma_f32 v6, -v3, v11, v10
	s_delay_alu instid0(VALU_DEP_1) | instskip(NEXT) | instid1(VALU_DEP_3)
	v_fmac_f32_e32 v11, v6, v5
	v_mad_u32 v9, v7, 18, v9
	s_delay_alu instid0(VALU_DEP_2) | instskip(NEXT) | instid1(VALU_DEP_1)
	v_fma_f32 v3, -v3, v11, v10
	v_div_fmas_f32 v3, v3, v5, v11
	v_cmp_neq_f32_e32 vcc_lo, 0, v12
	s_delay_alu instid0(VALU_DEP_4) | instskip(NEXT) | instid1(VALU_DEP_3)
	v_mad_nc_u64_u32 v[4:5], v4, 18, v[8:9]
	v_div_fixup_f32 v3, v3, v12, 1.0
	s_delay_alu instid0(VALU_DEP_1)
	v_dual_cndmask_b32 v13, 0, v3, vcc_lo :: v_dual_mov_b32 v3, v2
	s_branch .LBB8_4
.LBB8_2:                                ;   in Loop: Header=BB8_4 Depth=1
	s_or_b32 exec_lo, exec_lo, s5
.LBB8_3:                                ;   in Loop: Header=BB8_4 Depth=1
	s_delay_alu instid0(SALU_CYCLE_1) | instskip(NEXT) | instid1(VALU_DEP_1)
	s_or_b32 exec_lo, exec_lo, s4
	v_and_b32_e32 v8, 0xff, v14
	v_and_b32_e32 v9, 0xff, v15
	s_clause 0x1
	global_load_i8 v10, v8, s[0:1]
	global_load_i8 v16, v9, s[0:1]
	s_wait_xcnt 0x0
	v_pk_mul_f32 v[8:9], v[6:7], v[6:7]
	s_wait_loadcnt 0x1
	v_cvt_f32_i32_e32 v11, v10
	s_wait_loadcnt 0x0
	v_cvt_f32_i32_e32 v10, v16
	s_delay_alu instid0(VALU_DEP_2) | instskip(NEXT) | instid1(VALU_DEP_2)
	v_dual_mov_b32 v17, v6 :: v_dual_mov_b32 v16, v11
	v_pk_mul_f32 v[8:9], v[8:9], v[10:11]
	v_mov_b32_e32 v11, v7
	s_delay_alu instid0(VALU_DEP_2) | instskip(NEXT) | instid1(VALU_DEP_1)
	v_pk_mul_f32 v[6:7], v[16:17], v[8:9] op_sel:[0,1] op_sel_hi:[1,0]
	v_pk_fma_f32 v[6:7], v[10:11], v[8:9], v[6:7]
	v_add_nc_u64_e32 v[8:9], s[2:3], v[4:5]
	v_lshl_or_b32 v10, v14, 4, v15
	s_add_co_i32 s2, s2, 1
	s_delay_alu instid0(SALU_CYCLE_1)
	s_cmp_lg_u32 s2, 16
	v_pk_add_f32 v[2:3], v[2:3], v[6:7]
	global_store_b8 v[8:9], v10, off offset:2
	s_cbranch_scc0 .LBB8_15
.LBB8_4:                                ; =>This Loop Header: Depth=1
                                        ;     Child Loop BB8_7 Depth 2
                                        ;     Child Loop BB8_13 Depth 2
	s_wait_xcnt 0x0
	v_lshl_add_u64 v[8:9], s[2:3], 2, v[0:1]
	v_mov_b32_e32 v15, 0
	s_mov_b32 s4, exec_lo
	s_clause 0x1
	global_load_b32 v6, v[8:9], off
	global_load_b32 v7, v[8:9], off offset:64
	s_wait_loadcnt 0x1
	s_wait_xcnt 0x0
	v_dual_mov_b32 v14, 0 :: v_dual_mul_f32 v8, v13, v6
	s_delay_alu instid0(VALU_DEP_1)
	v_cmpx_nge_f32_e32 0xc2fe0000, v8
	s_cbranch_execz .LBB8_10
; %bb.5:                                ;   in Loop: Header=BB8_4 Depth=1
	v_mov_b32_e32 v15, 15
	s_mov_b32 s5, exec_lo
	v_cmpx_nle_f32_e32 0x42e20000, v8
	s_cbranch_execz .LBB8_9
; %bb.6:                                ;   in Loop: Header=BB8_4 Depth=1
	v_dual_mov_b32 v10, 15 :: v_dual_mov_b32 v9, 0
	s_mov_b32 s6, 0
.LBB8_7:                                ;   Parent Loop BB8_4 Depth=1
                                        ; =>  This Inner Loop Header: Depth=2
	s_delay_alu instid0(VALU_DEP_1) | instskip(NEXT) | instid1(VALU_DEP_1)
	v_add_nc_u32_e32 v11, v9, v10
	v_lshrrev_b32_e32 v15, 31, v11
	s_delay_alu instid0(VALU_DEP_1) | instskip(NEXT) | instid1(VALU_DEP_1)
	v_add_nc_u32_e32 v11, v11, v15
	v_ashrrev_i32_e32 v11, 1, v11
	global_load_i8 v15, v11, s[0:1]
	s_wait_loadcnt 0x0
	v_cvt_f32_i32_e32 v15, v15
	s_delay_alu instid0(VALU_DEP_1) | instskip(SKIP_2) | instid1(VALU_DEP_1)
	v_cmp_lt_f32_e32 vcc_lo, v8, v15
	v_dual_cndmask_b32 v9, v11, v9 :: v_dual_cndmask_b32 v10, v10, v11
	s_wait_xcnt 0x0
	v_sub_nc_u32_e32 v11, v10, v9
	s_delay_alu instid0(VALU_DEP_1) | instskip(SKIP_1) | instid1(SALU_CYCLE_1)
	v_cmp_gt_i32_e32 vcc_lo, 2, v11
	s_or_b32 s6, vcc_lo, s6
	s_and_not1_b32 exec_lo, exec_lo, s6
	s_cbranch_execnz .LBB8_7
; %bb.8:                                ;   in Loop: Header=BB8_4 Depth=1
	s_or_b32 exec_lo, exec_lo, s6
	v_ashrrev_i32_e32 v11, 31, v10
	s_delay_alu instid0(VALU_DEP_1) | instskip(NEXT) | instid1(VALU_DEP_1)
	v_add_nc_u64_e32 v[16:17], -1, v[10:11]
	v_add_nc_u64_e32 v[18:19], s[0:1], v[16:17]
	global_load_u16 v9, v[18:19], off
	s_wait_xcnt 0x0
	v_mov_b32_e32 v19, v8
	s_wait_loadcnt 0x0
	v_bfe_i32 v11, v9, 0, 8
	v_ashrrev_i16 v9, 8, v9
	s_delay_alu instid0(VALU_DEP_2) | instskip(NEXT) | instid1(VALU_DEP_2)
	v_bfe_i32 v11, v11, 0, 16
	v_bfe_i32 v9, v9, 0, 16
	s_delay_alu instid0(VALU_DEP_2) | instskip(NEXT) | instid1(VALU_DEP_2)
	v_cvt_f32_i32_e32 v18, v11
	v_cvt_f32_i32_e32 v9, v9
	s_delay_alu instid0(VALU_DEP_1) | instskip(NEXT) | instid1(VALU_DEP_1)
	v_pk_add_f32 v[8:9], v[8:9], v[18:19] neg_lo:[0,1] neg_hi:[0,1]
	v_cmp_lt_f32_e32 vcc_lo, v8, v9
	v_cndmask_b32_e32 v15, v10, v16, vcc_lo
.LBB8_9:                                ;   in Loop: Header=BB8_4 Depth=1
	s_or_b32 exec_lo, exec_lo, s5
.LBB8_10:                               ;   in Loop: Header=BB8_4 Depth=1
	s_delay_alu instid0(SALU_CYCLE_1) | instskip(SKIP_3) | instid1(VALU_DEP_1)
	s_or_b32 exec_lo, exec_lo, s4
	s_wait_loadcnt 0x0
	v_mul_f32_e32 v8, v13, v7
	s_mov_b32 s4, exec_lo
	v_cmpx_nge_f32_e32 0xc2fe0000, v8
	s_cbranch_execz .LBB8_3
; %bb.11:                               ;   in Loop: Header=BB8_4 Depth=1
	v_mov_b32_e32 v14, 15
	s_mov_b32 s5, exec_lo
	v_cmpx_nle_f32_e32 0x42e20000, v8
	s_cbranch_execz .LBB8_2
; %bb.12:                               ;   in Loop: Header=BB8_4 Depth=1
	v_dual_mov_b32 v10, 15 :: v_dual_mov_b32 v9, 0
	s_mov_b32 s6, 0
.LBB8_13:                               ;   Parent Loop BB8_4 Depth=1
                                        ; =>  This Inner Loop Header: Depth=2
	s_delay_alu instid0(VALU_DEP_1) | instskip(NEXT) | instid1(VALU_DEP_1)
	v_add_nc_u32_e32 v11, v9, v10
	v_lshrrev_b32_e32 v14, 31, v11
	s_delay_alu instid0(VALU_DEP_1) | instskip(NEXT) | instid1(VALU_DEP_1)
	v_add_nc_u32_e32 v11, v11, v14
	v_ashrrev_i32_e32 v11, 1, v11
	global_load_i8 v14, v11, s[0:1]
	s_wait_loadcnt 0x0
	v_cvt_f32_i32_e32 v14, v14
	s_delay_alu instid0(VALU_DEP_1) | instskip(SKIP_2) | instid1(VALU_DEP_1)
	v_cmp_lt_f32_e32 vcc_lo, v8, v14
	v_dual_cndmask_b32 v9, v11, v9 :: v_dual_cndmask_b32 v10, v10, v11
	s_wait_xcnt 0x0
	v_sub_nc_u32_e32 v11, v10, v9
	s_delay_alu instid0(VALU_DEP_1) | instskip(SKIP_1) | instid1(SALU_CYCLE_1)
	v_cmp_gt_i32_e32 vcc_lo, 2, v11
	s_or_b32 s6, vcc_lo, s6
	s_and_not1_b32 exec_lo, exec_lo, s6
	s_cbranch_execnz .LBB8_13
; %bb.14:                               ;   in Loop: Header=BB8_4 Depth=1
	s_or_b32 exec_lo, exec_lo, s6
	v_ashrrev_i32_e32 v11, 31, v10
	s_delay_alu instid0(VALU_DEP_1) | instskip(NEXT) | instid1(VALU_DEP_1)
	v_add_nc_u64_e32 v[16:17], -1, v[10:11]
	v_add_nc_u64_e32 v[18:19], s[0:1], v[16:17]
	global_load_u16 v9, v[18:19], off
	s_wait_xcnt 0x0
	v_mov_b32_e32 v19, v8
	s_wait_loadcnt 0x0
	v_bfe_i32 v11, v9, 0, 8
	v_ashrrev_i16 v9, 8, v9
	s_delay_alu instid0(VALU_DEP_2) | instskip(NEXT) | instid1(VALU_DEP_2)
	v_bfe_i32 v11, v11, 0, 16
	v_bfe_i32 v9, v9, 0, 16
	s_delay_alu instid0(VALU_DEP_2) | instskip(NEXT) | instid1(VALU_DEP_2)
	v_cvt_f32_i32_e32 v18, v11
	v_cvt_f32_i32_e32 v9, v9
	s_delay_alu instid0(VALU_DEP_1) | instskip(NEXT) | instid1(VALU_DEP_1)
	v_pk_add_f32 v[8:9], v[8:9], v[18:19] neg_lo:[0,1] neg_hi:[0,1]
	v_cmp_lt_f32_e32 vcc_lo, v8, v9
	v_cndmask_b32_e32 v14, v10, v16, vcc_lo
	s_branch .LBB8_2
.LBB8_15:
	v_div_scale_f32 v0, null, v2, v2, v3
	s_delay_alu instid0(VALU_DEP_1) | instskip(SKIP_1) | instid1(TRANS32_DEP_1)
	v_rcp_f32_e32 v1, v0
	v_nop
	v_fma_f32 v6, -v0, v1, 1.0
	s_delay_alu instid0(VALU_DEP_1) | instskip(SKIP_1) | instid1(VALU_DEP_1)
	v_fmac_f32_e32 v1, v6, v1
	v_div_scale_f32 v6, vcc_lo, v3, v2, v3
	v_mul_f32_e32 v7, v6, v1
	s_wait_xcnt 0x0
	s_delay_alu instid0(VALU_DEP_1) | instskip(NEXT) | instid1(VALU_DEP_1)
	v_fma_f32 v8, -v0, v7, v6
	v_fmac_f32_e32 v7, v8, v1
	s_delay_alu instid0(VALU_DEP_1) | instskip(NEXT) | instid1(VALU_DEP_1)
	v_fma_f32 v0, -v0, v7, v6
	v_div_fmas_f32 v0, v0, v1, v7
	v_cmp_lt_f32_e32 vcc_lo, 0, v2
	s_delay_alu instid0(VALU_DEP_2) | instskip(NEXT) | instid1(VALU_DEP_1)
	v_div_fixup_f32 v0, v0, v2, v3
	v_cndmask_b32_e32 v0, v12, v0, vcc_lo
	s_delay_alu instid0(VALU_DEP_1)
	v_cvt_f16_f32_e32 v0, v0
	global_store_b16 v[4:5], v0, off
.LBB8_16:
	s_endpgm
	.section	.rodata,"a",@progbits
	.p2align	6, 0x0
	.amdhsa_kernel _ZL16k_set_rows_quantIl12block_iq4_nlLi32ETnPFvPKfPT0_EXadL_ZL25quantize_f32_iq4_nl_blockS2_PS0_EEEvS2_PKT_S4_llllllllllllll15HIP_vector_typeIjLj3EESC_SC_SC_SC_
		.amdhsa_group_segment_fixed_size 0
		.amdhsa_private_segment_fixed_size 0
		.amdhsa_kernarg_size 456
		.amdhsa_user_sgpr_count 2
		.amdhsa_user_sgpr_dispatch_ptr 0
		.amdhsa_user_sgpr_queue_ptr 0
		.amdhsa_user_sgpr_kernarg_segment_ptr 1
		.amdhsa_user_sgpr_dispatch_id 0
		.amdhsa_user_sgpr_kernarg_preload_length 0
		.amdhsa_user_sgpr_kernarg_preload_offset 0
		.amdhsa_user_sgpr_private_segment_size 0
		.amdhsa_wavefront_size32 1
		.amdhsa_uses_dynamic_stack 0
		.amdhsa_enable_private_segment 0
		.amdhsa_system_sgpr_workgroup_id_x 1
		.amdhsa_system_sgpr_workgroup_id_y 0
		.amdhsa_system_sgpr_workgroup_id_z 0
		.amdhsa_system_sgpr_workgroup_info 0
		.amdhsa_system_vgpr_workitem_id 0
		.amdhsa_next_free_vgpr 46
		.amdhsa_next_free_sgpr 32
		.amdhsa_named_barrier_count 0
		.amdhsa_reserve_vcc 1
		.amdhsa_float_round_mode_32 0
		.amdhsa_float_round_mode_16_64 0
		.amdhsa_float_denorm_mode_32 3
		.amdhsa_float_denorm_mode_16_64 3
		.amdhsa_fp16_overflow 0
		.amdhsa_memory_ordered 1
		.amdhsa_forward_progress 1
		.amdhsa_inst_pref_size 22
		.amdhsa_round_robin_scheduling 0
		.amdhsa_exception_fp_ieee_invalid_op 0
		.amdhsa_exception_fp_denorm_src 0
		.amdhsa_exception_fp_ieee_div_zero 0
		.amdhsa_exception_fp_ieee_overflow 0
		.amdhsa_exception_fp_ieee_underflow 0
		.amdhsa_exception_fp_ieee_inexact 0
		.amdhsa_exception_int_div_zero 0
	.end_amdhsa_kernel
	.section	.text._ZL16k_set_rows_quantIl12block_iq4_nlLi32ETnPFvPKfPT0_EXadL_ZL25quantize_f32_iq4_nl_blockS2_PS0_EEEvS2_PKT_S4_llllllllllllll15HIP_vector_typeIjLj3EESC_SC_SC_SC_,"axG",@progbits,_ZL16k_set_rows_quantIl12block_iq4_nlLi32ETnPFvPKfPT0_EXadL_ZL25quantize_f32_iq4_nl_blockS2_PS0_EEEvS2_PKT_S4_llllllllllllll15HIP_vector_typeIjLj3EESC_SC_SC_SC_,comdat
.Lfunc_end8:
	.size	_ZL16k_set_rows_quantIl12block_iq4_nlLi32ETnPFvPKfPT0_EXadL_ZL25quantize_f32_iq4_nl_blockS2_PS0_EEEvS2_PKT_S4_llllllllllllll15HIP_vector_typeIjLj3EESC_SC_SC_SC_, .Lfunc_end8-_ZL16k_set_rows_quantIl12block_iq4_nlLi32ETnPFvPKfPT0_EXadL_ZL25quantize_f32_iq4_nl_blockS2_PS0_EEEvS2_PKT_S4_llllllllllllll15HIP_vector_typeIjLj3EESC_SC_SC_SC_
                                        ; -- End function
	.set _ZL16k_set_rows_quantIl12block_iq4_nlLi32ETnPFvPKfPT0_EXadL_ZL25quantize_f32_iq4_nl_blockS2_PS0_EEEvS2_PKT_S4_llllllllllllll15HIP_vector_typeIjLj3EESC_SC_SC_SC_.num_vgpr, 46
	.set _ZL16k_set_rows_quantIl12block_iq4_nlLi32ETnPFvPKfPT0_EXadL_ZL25quantize_f32_iq4_nl_blockS2_PS0_EEEvS2_PKT_S4_llllllllllllll15HIP_vector_typeIjLj3EESC_SC_SC_SC_.num_agpr, 0
	.set _ZL16k_set_rows_quantIl12block_iq4_nlLi32ETnPFvPKfPT0_EXadL_ZL25quantize_f32_iq4_nl_blockS2_PS0_EEEvS2_PKT_S4_llllllllllllll15HIP_vector_typeIjLj3EESC_SC_SC_SC_.numbered_sgpr, 32
	.set _ZL16k_set_rows_quantIl12block_iq4_nlLi32ETnPFvPKfPT0_EXadL_ZL25quantize_f32_iq4_nl_blockS2_PS0_EEEvS2_PKT_S4_llllllllllllll15HIP_vector_typeIjLj3EESC_SC_SC_SC_.num_named_barrier, 0
	.set _ZL16k_set_rows_quantIl12block_iq4_nlLi32ETnPFvPKfPT0_EXadL_ZL25quantize_f32_iq4_nl_blockS2_PS0_EEEvS2_PKT_S4_llllllllllllll15HIP_vector_typeIjLj3EESC_SC_SC_SC_.private_seg_size, 0
	.set _ZL16k_set_rows_quantIl12block_iq4_nlLi32ETnPFvPKfPT0_EXadL_ZL25quantize_f32_iq4_nl_blockS2_PS0_EEEvS2_PKT_S4_llllllllllllll15HIP_vector_typeIjLj3EESC_SC_SC_SC_.uses_vcc, 1
	.set _ZL16k_set_rows_quantIl12block_iq4_nlLi32ETnPFvPKfPT0_EXadL_ZL25quantize_f32_iq4_nl_blockS2_PS0_EEEvS2_PKT_S4_llllllllllllll15HIP_vector_typeIjLj3EESC_SC_SC_SC_.uses_flat_scratch, 0
	.set _ZL16k_set_rows_quantIl12block_iq4_nlLi32ETnPFvPKfPT0_EXadL_ZL25quantize_f32_iq4_nl_blockS2_PS0_EEEvS2_PKT_S4_llllllllllllll15HIP_vector_typeIjLj3EESC_SC_SC_SC_.has_dyn_sized_stack, 0
	.set _ZL16k_set_rows_quantIl12block_iq4_nlLi32ETnPFvPKfPT0_EXadL_ZL25quantize_f32_iq4_nl_blockS2_PS0_EEEvS2_PKT_S4_llllllllllllll15HIP_vector_typeIjLj3EESC_SC_SC_SC_.has_recursion, 0
	.set _ZL16k_set_rows_quantIl12block_iq4_nlLi32ETnPFvPKfPT0_EXadL_ZL25quantize_f32_iq4_nl_blockS2_PS0_EEEvS2_PKT_S4_llllllllllllll15HIP_vector_typeIjLj3EESC_SC_SC_SC_.has_indirect_call, 0
	.section	.AMDGPU.csdata,"",@progbits
; Kernel info:
; codeLenInByte = 2776
; TotalNumSgprs: 34
; NumVgprs: 46
; ScratchSize: 0
; MemoryBound: 0
; FloatMode: 240
; IeeeMode: 1
; LDSByteSize: 0 bytes/workgroup (compile time only)
; SGPRBlocks: 0
; VGPRBlocks: 2
; NumSGPRsForWavesPerEU: 34
; NumVGPRsForWavesPerEU: 46
; NamedBarCnt: 0
; Occupancy: 16
; WaveLimiterHint : 1
; COMPUTE_PGM_RSRC2:SCRATCH_EN: 0
; COMPUTE_PGM_RSRC2:USER_SGPR: 2
; COMPUTE_PGM_RSRC2:TRAP_HANDLER: 0
; COMPUTE_PGM_RSRC2:TGID_X_EN: 1
; COMPUTE_PGM_RSRC2:TGID_Y_EN: 0
; COMPUTE_PGM_RSRC2:TGID_Z_EN: 0
; COMPUTE_PGM_RSRC2:TIDIG_COMP_CNT: 0
	.section	.text._ZL10k_set_rowsIfifEvPKT_PKT0_PT1_llllllllllllll15HIP_vector_typeIjLj3EES9_S9_S9_S9_,"axG",@progbits,_ZL10k_set_rowsIfifEvPKT_PKT0_PT1_llllllllllllll15HIP_vector_typeIjLj3EES9_S9_S9_S9_,comdat
	.globl	_ZL10k_set_rowsIfifEvPKT_PKT0_PT1_llllllllllllll15HIP_vector_typeIjLj3EES9_S9_S9_S9_ ; -- Begin function _ZL10k_set_rowsIfifEvPKT_PKT0_PT1_llllllllllllll15HIP_vector_typeIjLj3EES9_S9_S9_S9_
	.p2align	8
	.type	_ZL10k_set_rowsIfifEvPKT_PKT0_PT1_llllllllllllll15HIP_vector_typeIjLj3EES9_S9_S9_S9_,@function
_ZL10k_set_rowsIfifEvPKT_PKT0_PT1_llllllllllllll15HIP_vector_typeIjLj3EES9_S9_S9_S9_: ; @_ZL10k_set_rowsIfifEvPKT_PKT0_PT1_llllllllllllll15HIP_vector_typeIjLj3EES9_S9_S9_S9_
; %bb.0:
	s_load_b32 s2, s[0:1], 0xd4
	s_bfe_u32 s4, ttmp6, 0x4000c
	s_load_b256 s[20:27], s[0:1], 0x0
	s_add_co_i32 s4, s4, 1
	s_and_b32 s3, ttmp6, 15
	s_mul_i32 s4, ttmp9, s4
	s_getreg_b32 s5, hwreg(HW_REG_IB_STS2, 6, 4)
	v_mov_b32_e32 v1, 0
	s_add_co_i32 s3, s3, s4
	s_wait_kmcnt 0x0
	s_and_b32 s2, s2, 0xffff
	s_cmp_eq_u32 s5, 0
	s_cselect_b32 s3, ttmp9, s3
	s_delay_alu instid0(SALU_CYCLE_1) | instskip(SKIP_2) | instid1(VALU_DEP_1)
	v_mad_nc_u64_u32 v[2:3], s2, s3, v[0:1]
	s_mov_b32 s3, 0
	s_mov_b32 s2, exec_lo
	v_cmpx_gt_i64_e64 s[26:27], v[2:3]
	s_cbranch_execz .LBB9_2
; %bb.1:
	s_load_b256 s[36:43], s[0:1], 0x88
	v_mov_b32_e32 v3, v1
	s_clause 0x2
	s_load_b128 s[28:31], s[0:1], 0xa8
	s_load_b96 s[44:46], s[0:1], 0xb8
	s_load_b512 s[4:19], s[0:1], 0x40
	v_mov_b32_e32 v15, v1
	s_wait_xcnt 0x0
	s_load_b64 s[0:1], s[0:1], 0x80
	s_wait_kmcnt 0x0
	s_mov_b32 s2, s36
	s_delay_alu instid0(SALU_CYCLE_1) | instskip(NEXT) | instid1(VALU_DEP_1)
	v_mul_u64_e32 v[4:5], s[2:3], v[2:3]
	v_add_nc_u32_e32 v0, v5, v2
	s_delay_alu instid0(VALU_DEP_1) | instskip(NEXT) | instid1(VALU_DEP_1)
	v_lshrrev_b32_e32 v0, s37, v0
	v_mul_hi_u32 v3, v0, s39
	s_delay_alu instid0(VALU_DEP_1) | instskip(NEXT) | instid1(VALU_DEP_1)
	v_add_nc_u32_e32 v3, v0, v3
	v_lshrrev_b32_e32 v3, s40, v3
	s_delay_alu instid0(VALU_DEP_1) | instskip(NEXT) | instid1(VALU_DEP_1)
	v_mul_hi_u32 v4, v3, s42
	v_add_nc_u32_e32 v4, v3, v4
	s_delay_alu instid0(VALU_DEP_1) | instskip(NEXT) | instid1(VALU_DEP_1)
	v_lshrrev_b32_e32 v4, s43, v4
	v_mul_lo_u32 v5, v4, s28
	v_mul_hi_u32 v7, v4, s44
	s_delay_alu instid0(VALU_DEP_1) | instskip(SKIP_2) | instid1(VALU_DEP_3)
	v_dual_sub_nc_u32 v6, v3, v5 :: v_dual_add_nc_u32 v7, v4, v7
	v_mul_lo_u32 v3, v3, s41
	v_mov_b32_e32 v9, v1
	v_mul_hi_u32 v5, v6, s29
	s_delay_alu instid0(VALU_DEP_4) | instskip(NEXT) | instid1(VALU_DEP_1)
	v_lshrrev_b32_e32 v7, s45, v7
	v_mul_lo_u32 v7, v7, s46
	v_sub_nc_u32_e32 v8, v0, v3
	v_mul_lo_u32 v0, v0, s38
	v_add_nc_u32_e32 v5, v6, v5
	s_delay_alu instid0(VALU_DEP_3) | instskip(SKIP_1) | instid1(VALU_DEP_3)
	v_mul_u64_e32 v[12:13], s[10:11], v[8:9]
	v_mul_u64_e32 v[8:9], s[4:5], v[8:9]
	v_dual_lshrrev_b32 v5, s30, v5 :: v_dual_sub_nc_u32 v14, v4, v7
	v_mov_b32_e32 v7, v1
	s_delay_alu instid0(VALU_DEP_2) | instskip(SKIP_1) | instid1(VALU_DEP_4)
	v_mul_lo_u32 v5, v5, s31
	v_mov_b32_e32 v11, v1
	v_mul_u64_e32 v[14:15], s[14:15], v[14:15]
	s_delay_alu instid0(VALU_DEP_3) | instskip(NEXT) | instid1(VALU_DEP_1)
	v_dual_mov_b32 v5, v1 :: v_dual_sub_nc_u32 v10, v6, v5
	v_mul_u64_e32 v[10:11], s[12:13], v[10:11]
	v_lshl_add_u64 v[12:13], v[12:13], 2, s[22:23]
	v_lshl_add_u64 v[8:9], v[8:9], 2, s[20:21]
	s_delay_alu instid0(VALU_DEP_2) | instskip(SKIP_2) | instid1(VALU_DEP_3)
	v_lshl_add_u64 v[10:11], v[10:11], 2, v[12:13]
	v_mul_u64_e32 v[12:13], s[6:7], v[6:7]
	v_mul_u64_e32 v[6:7], s[18:19], v[6:7]
	v_lshl_add_u64 v[10:11], v[14:15], 2, v[10:11]
	v_mul_u64_e32 v[14:15], s[8:9], v[4:5]
	v_mul_u64_e32 v[4:5], s[0:1], v[4:5]
	global_load_b32 v10, v[10:11], off
	v_sub_nc_u32_e32 v0, v2, v0
	v_lshl_add_u64 v[2:3], v[12:13], 2, v[8:9]
	s_delay_alu instid0(VALU_DEP_1) | instskip(SKIP_3) | instid1(VALU_DEP_1)
	v_lshl_add_u64 v[2:3], v[14:15], 2, v[2:3]
	s_wait_loadcnt 0x0
	v_ashrrev_i32_e32 v11, 31, v10
	v_lshlrev_b64_e32 v[0:1], 2, v[0:1]
	v_add_nc_u64_e32 v[2:3], v[2:3], v[0:1]
	global_load_b32 v8, v[2:3], off
	s_wait_xcnt 0x0
	v_mul_u64_e32 v[2:3], s[16:17], v[10:11]
	s_delay_alu instid0(VALU_DEP_1) | instskip(NEXT) | instid1(VALU_DEP_1)
	v_lshl_add_u64 v[2:3], v[2:3], 2, s[24:25]
	v_lshl_add_u64 v[2:3], v[6:7], 2, v[2:3]
	s_delay_alu instid0(VALU_DEP_1) | instskip(NEXT) | instid1(VALU_DEP_1)
	v_lshl_add_u64 v[2:3], v[4:5], 2, v[2:3]
	v_add_nc_u64_e32 v[0:1], v[2:3], v[0:1]
	s_wait_loadcnt 0x0
	global_store_b32 v[0:1], v8, off
.LBB9_2:
	s_endpgm
	.section	.rodata,"a",@progbits
	.p2align	6, 0x0
	.amdhsa_kernel _ZL10k_set_rowsIfifEvPKT_PKT0_PT1_llllllllllllll15HIP_vector_typeIjLj3EES9_S9_S9_S9_
		.amdhsa_group_segment_fixed_size 0
		.amdhsa_private_segment_fixed_size 0
		.amdhsa_kernarg_size 456
		.amdhsa_user_sgpr_count 2
		.amdhsa_user_sgpr_dispatch_ptr 0
		.amdhsa_user_sgpr_queue_ptr 0
		.amdhsa_user_sgpr_kernarg_segment_ptr 1
		.amdhsa_user_sgpr_dispatch_id 0
		.amdhsa_user_sgpr_kernarg_preload_length 0
		.amdhsa_user_sgpr_kernarg_preload_offset 0
		.amdhsa_user_sgpr_private_segment_size 0
		.amdhsa_wavefront_size32 1
		.amdhsa_uses_dynamic_stack 0
		.amdhsa_enable_private_segment 0
		.amdhsa_system_sgpr_workgroup_id_x 1
		.amdhsa_system_sgpr_workgroup_id_y 0
		.amdhsa_system_sgpr_workgroup_id_z 0
		.amdhsa_system_sgpr_workgroup_info 0
		.amdhsa_system_vgpr_workitem_id 0
		.amdhsa_next_free_vgpr 16
		.amdhsa_next_free_sgpr 47
		.amdhsa_named_barrier_count 0
		.amdhsa_reserve_vcc 0
		.amdhsa_float_round_mode_32 0
		.amdhsa_float_round_mode_16_64 0
		.amdhsa_float_denorm_mode_32 3
		.amdhsa_float_denorm_mode_16_64 3
		.amdhsa_fp16_overflow 0
		.amdhsa_memory_ordered 1
		.amdhsa_forward_progress 1
		.amdhsa_inst_pref_size 5
		.amdhsa_round_robin_scheduling 0
		.amdhsa_exception_fp_ieee_invalid_op 0
		.amdhsa_exception_fp_denorm_src 0
		.amdhsa_exception_fp_ieee_div_zero 0
		.amdhsa_exception_fp_ieee_overflow 0
		.amdhsa_exception_fp_ieee_underflow 0
		.amdhsa_exception_fp_ieee_inexact 0
		.amdhsa_exception_int_div_zero 0
	.end_amdhsa_kernel
	.section	.text._ZL10k_set_rowsIfifEvPKT_PKT0_PT1_llllllllllllll15HIP_vector_typeIjLj3EES9_S9_S9_S9_,"axG",@progbits,_ZL10k_set_rowsIfifEvPKT_PKT0_PT1_llllllllllllll15HIP_vector_typeIjLj3EES9_S9_S9_S9_,comdat
.Lfunc_end9:
	.size	_ZL10k_set_rowsIfifEvPKT_PKT0_PT1_llllllllllllll15HIP_vector_typeIjLj3EES9_S9_S9_S9_, .Lfunc_end9-_ZL10k_set_rowsIfifEvPKT_PKT0_PT1_llllllllllllll15HIP_vector_typeIjLj3EES9_S9_S9_S9_
                                        ; -- End function
	.set _ZL10k_set_rowsIfifEvPKT_PKT0_PT1_llllllllllllll15HIP_vector_typeIjLj3EES9_S9_S9_S9_.num_vgpr, 16
	.set _ZL10k_set_rowsIfifEvPKT_PKT0_PT1_llllllllllllll15HIP_vector_typeIjLj3EES9_S9_S9_S9_.num_agpr, 0
	.set _ZL10k_set_rowsIfifEvPKT_PKT0_PT1_llllllllllllll15HIP_vector_typeIjLj3EES9_S9_S9_S9_.numbered_sgpr, 47
	.set _ZL10k_set_rowsIfifEvPKT_PKT0_PT1_llllllllllllll15HIP_vector_typeIjLj3EES9_S9_S9_S9_.num_named_barrier, 0
	.set _ZL10k_set_rowsIfifEvPKT_PKT0_PT1_llllllllllllll15HIP_vector_typeIjLj3EES9_S9_S9_S9_.private_seg_size, 0
	.set _ZL10k_set_rowsIfifEvPKT_PKT0_PT1_llllllllllllll15HIP_vector_typeIjLj3EES9_S9_S9_S9_.uses_vcc, 0
	.set _ZL10k_set_rowsIfifEvPKT_PKT0_PT1_llllllllllllll15HIP_vector_typeIjLj3EES9_S9_S9_S9_.uses_flat_scratch, 0
	.set _ZL10k_set_rowsIfifEvPKT_PKT0_PT1_llllllllllllll15HIP_vector_typeIjLj3EES9_S9_S9_S9_.has_dyn_sized_stack, 0
	.set _ZL10k_set_rowsIfifEvPKT_PKT0_PT1_llllllllllllll15HIP_vector_typeIjLj3EES9_S9_S9_S9_.has_recursion, 0
	.set _ZL10k_set_rowsIfifEvPKT_PKT0_PT1_llllllllllllll15HIP_vector_typeIjLj3EES9_S9_S9_S9_.has_indirect_call, 0
	.section	.AMDGPU.csdata,"",@progbits
; Kernel info:
; codeLenInByte = 556
; TotalNumSgprs: 47
; NumVgprs: 16
; ScratchSize: 0
; MemoryBound: 0
; FloatMode: 240
; IeeeMode: 1
; LDSByteSize: 0 bytes/workgroup (compile time only)
; SGPRBlocks: 0
; VGPRBlocks: 0
; NumSGPRsForWavesPerEU: 47
; NumVGPRsForWavesPerEU: 16
; NamedBarCnt: 0
; Occupancy: 16
; WaveLimiterHint : 1
; COMPUTE_PGM_RSRC2:SCRATCH_EN: 0
; COMPUTE_PGM_RSRC2:USER_SGPR: 2
; COMPUTE_PGM_RSRC2:TRAP_HANDLER: 0
; COMPUTE_PGM_RSRC2:TGID_X_EN: 1
; COMPUTE_PGM_RSRC2:TGID_Y_EN: 0
; COMPUTE_PGM_RSRC2:TGID_Z_EN: 0
; COMPUTE_PGM_RSRC2:TIDIG_COMP_CNT: 0
	.section	.text._ZL10k_set_rowsIfi6__halfEvPKT_PKT0_PT1_llllllllllllll15HIP_vector_typeIjLj3EESA_SA_SA_SA_,"axG",@progbits,_ZL10k_set_rowsIfi6__halfEvPKT_PKT0_PT1_llllllllllllll15HIP_vector_typeIjLj3EESA_SA_SA_SA_,comdat
	.globl	_ZL10k_set_rowsIfi6__halfEvPKT_PKT0_PT1_llllllllllllll15HIP_vector_typeIjLj3EESA_SA_SA_SA_ ; -- Begin function _ZL10k_set_rowsIfi6__halfEvPKT_PKT0_PT1_llllllllllllll15HIP_vector_typeIjLj3EESA_SA_SA_SA_
	.p2align	8
	.type	_ZL10k_set_rowsIfi6__halfEvPKT_PKT0_PT1_llllllllllllll15HIP_vector_typeIjLj3EESA_SA_SA_SA_,@function
_ZL10k_set_rowsIfi6__halfEvPKT_PKT0_PT1_llllllllllllll15HIP_vector_typeIjLj3EESA_SA_SA_SA_: ; @_ZL10k_set_rowsIfi6__halfEvPKT_PKT0_PT1_llllllllllllll15HIP_vector_typeIjLj3EESA_SA_SA_SA_
; %bb.0:
	s_load_b32 s2, s[0:1], 0xd4
	s_bfe_u32 s4, ttmp6, 0x4000c
	s_load_b256 s[20:27], s[0:1], 0x0
	s_add_co_i32 s4, s4, 1
	s_and_b32 s3, ttmp6, 15
	s_mul_i32 s4, ttmp9, s4
	s_getreg_b32 s5, hwreg(HW_REG_IB_STS2, 6, 4)
	v_mov_b32_e32 v1, 0
	s_add_co_i32 s3, s3, s4
	s_wait_kmcnt 0x0
	s_and_b32 s2, s2, 0xffff
	s_cmp_eq_u32 s5, 0
	s_cselect_b32 s3, ttmp9, s3
	s_delay_alu instid0(SALU_CYCLE_1) | instskip(SKIP_2) | instid1(VALU_DEP_1)
	v_mad_nc_u64_u32 v[2:3], s2, s3, v[0:1]
	s_mov_b32 s3, 0
	s_mov_b32 s2, exec_lo
	v_cmpx_gt_i64_e64 s[26:27], v[2:3]
	s_cbranch_execz .LBB10_2
; %bb.1:
	s_load_b256 s[36:43], s[0:1], 0x88
	v_mov_b32_e32 v3, v1
	s_clause 0x2
	s_load_b128 s[28:31], s[0:1], 0xa8
	s_load_b96 s[44:46], s[0:1], 0xb8
	s_load_b512 s[4:19], s[0:1], 0x40
	v_mov_b32_e32 v15, v1
	s_wait_xcnt 0x0
	s_load_b64 s[0:1], s[0:1], 0x80
	s_wait_kmcnt 0x0
	s_mov_b32 s2, s36
	s_delay_alu instid0(SALU_CYCLE_1) | instskip(NEXT) | instid1(VALU_DEP_1)
	v_mul_u64_e32 v[4:5], s[2:3], v[2:3]
	v_add_nc_u32_e32 v0, v5, v2
	s_delay_alu instid0(VALU_DEP_1) | instskip(NEXT) | instid1(VALU_DEP_1)
	v_lshrrev_b32_e32 v0, s37, v0
	v_mul_hi_u32 v3, v0, s39
	s_delay_alu instid0(VALU_DEP_1) | instskip(NEXT) | instid1(VALU_DEP_1)
	v_add_nc_u32_e32 v3, v0, v3
	v_lshrrev_b32_e32 v3, s40, v3
	s_delay_alu instid0(VALU_DEP_1) | instskip(NEXT) | instid1(VALU_DEP_1)
	v_mul_hi_u32 v4, v3, s42
	v_add_nc_u32_e32 v4, v3, v4
	s_delay_alu instid0(VALU_DEP_1) | instskip(NEXT) | instid1(VALU_DEP_1)
	v_lshrrev_b32_e32 v4, s43, v4
	v_mul_lo_u32 v5, v4, s28
	v_mul_hi_u32 v7, v4, s44
	s_delay_alu instid0(VALU_DEP_1) | instskip(SKIP_2) | instid1(VALU_DEP_3)
	v_dual_sub_nc_u32 v6, v3, v5 :: v_dual_add_nc_u32 v7, v4, v7
	v_mul_lo_u32 v3, v3, s41
	v_mov_b32_e32 v9, v1
	v_mul_hi_u32 v5, v6, s29
	s_delay_alu instid0(VALU_DEP_4) | instskip(NEXT) | instid1(VALU_DEP_1)
	v_lshrrev_b32_e32 v7, s45, v7
	v_mul_lo_u32 v7, v7, s46
	v_sub_nc_u32_e32 v8, v0, v3
	v_mul_lo_u32 v0, v0, s38
	v_add_nc_u32_e32 v5, v6, v5
	s_delay_alu instid0(VALU_DEP_3) | instskip(SKIP_1) | instid1(VALU_DEP_3)
	v_mul_u64_e32 v[12:13], s[10:11], v[8:9]
	v_mul_u64_e32 v[8:9], s[4:5], v[8:9]
	v_dual_lshrrev_b32 v5, s30, v5 :: v_dual_sub_nc_u32 v14, v4, v7
	v_mov_b32_e32 v7, v1
	s_delay_alu instid0(VALU_DEP_2) | instskip(SKIP_1) | instid1(VALU_DEP_4)
	v_mul_lo_u32 v5, v5, s31
	v_mov_b32_e32 v11, v1
	v_mul_u64_e32 v[14:15], s[14:15], v[14:15]
	s_delay_alu instid0(VALU_DEP_3) | instskip(NEXT) | instid1(VALU_DEP_1)
	v_dual_mov_b32 v5, v1 :: v_dual_sub_nc_u32 v10, v6, v5
	v_mul_u64_e32 v[10:11], s[12:13], v[10:11]
	v_lshl_add_u64 v[12:13], v[12:13], 2, s[22:23]
	v_lshl_add_u64 v[8:9], v[8:9], 2, s[20:21]
	s_delay_alu instid0(VALU_DEP_2) | instskip(SKIP_2) | instid1(VALU_DEP_3)
	v_lshl_add_u64 v[10:11], v[10:11], 2, v[12:13]
	v_mul_u64_e32 v[12:13], s[6:7], v[6:7]
	v_mul_u64_e32 v[6:7], s[18:19], v[6:7]
	v_lshl_add_u64 v[10:11], v[14:15], 2, v[10:11]
	v_mul_u64_e32 v[14:15], s[8:9], v[4:5]
	v_mul_u64_e32 v[4:5], s[0:1], v[4:5]
	global_load_b32 v10, v[10:11], off
	v_sub_nc_u32_e32 v0, v2, v0
	v_lshl_add_u64 v[8:9], v[12:13], 2, v[8:9]
	s_delay_alu instid0(VALU_DEP_1) | instskip(SKIP_2) | instid1(VALU_DEP_2)
	v_lshl_add_u64 v[2:3], v[14:15], 2, v[8:9]
	s_wait_loadcnt 0x0
	v_ashrrev_i32_e32 v11, 31, v10
	v_lshl_add_u64 v[2:3], v[0:1], 2, v[2:3]
	global_load_b32 v8, v[2:3], off
	s_wait_xcnt 0x0
	v_mul_u64_e32 v[2:3], s[16:17], v[10:11]
	s_delay_alu instid0(VALU_DEP_1) | instskip(NEXT) | instid1(VALU_DEP_1)
	v_lshl_add_u64 v[2:3], v[2:3], 1, s[24:25]
	v_lshl_add_u64 v[2:3], v[6:7], 1, v[2:3]
	s_delay_alu instid0(VALU_DEP_1) | instskip(NEXT) | instid1(VALU_DEP_1)
	v_lshl_add_u64 v[2:3], v[4:5], 1, v[2:3]
	v_lshl_add_u64 v[0:1], v[0:1], 1, v[2:3]
	s_wait_loadcnt 0x0
	v_cvt_f16_f32_e32 v4, v8
	global_store_b16 v[0:1], v4, off
.LBB10_2:
	s_endpgm
	.section	.rodata,"a",@progbits
	.p2align	6, 0x0
	.amdhsa_kernel _ZL10k_set_rowsIfi6__halfEvPKT_PKT0_PT1_llllllllllllll15HIP_vector_typeIjLj3EESA_SA_SA_SA_
		.amdhsa_group_segment_fixed_size 0
		.amdhsa_private_segment_fixed_size 0
		.amdhsa_kernarg_size 456
		.amdhsa_user_sgpr_count 2
		.amdhsa_user_sgpr_dispatch_ptr 0
		.amdhsa_user_sgpr_queue_ptr 0
		.amdhsa_user_sgpr_kernarg_segment_ptr 1
		.amdhsa_user_sgpr_dispatch_id 0
		.amdhsa_user_sgpr_kernarg_preload_length 0
		.amdhsa_user_sgpr_kernarg_preload_offset 0
		.amdhsa_user_sgpr_private_segment_size 0
		.amdhsa_wavefront_size32 1
		.amdhsa_uses_dynamic_stack 0
		.amdhsa_enable_private_segment 0
		.amdhsa_system_sgpr_workgroup_id_x 1
		.amdhsa_system_sgpr_workgroup_id_y 0
		.amdhsa_system_sgpr_workgroup_id_z 0
		.amdhsa_system_sgpr_workgroup_info 0
		.amdhsa_system_vgpr_workitem_id 0
		.amdhsa_next_free_vgpr 16
		.amdhsa_next_free_sgpr 47
		.amdhsa_named_barrier_count 0
		.amdhsa_reserve_vcc 0
		.amdhsa_float_round_mode_32 0
		.amdhsa_float_round_mode_16_64 0
		.amdhsa_float_denorm_mode_32 3
		.amdhsa_float_denorm_mode_16_64 3
		.amdhsa_fp16_overflow 0
		.amdhsa_memory_ordered 1
		.amdhsa_forward_progress 1
		.amdhsa_inst_pref_size 5
		.amdhsa_round_robin_scheduling 0
		.amdhsa_exception_fp_ieee_invalid_op 0
		.amdhsa_exception_fp_denorm_src 0
		.amdhsa_exception_fp_ieee_div_zero 0
		.amdhsa_exception_fp_ieee_overflow 0
		.amdhsa_exception_fp_ieee_underflow 0
		.amdhsa_exception_fp_ieee_inexact 0
		.amdhsa_exception_int_div_zero 0
	.end_amdhsa_kernel
	.section	.text._ZL10k_set_rowsIfi6__halfEvPKT_PKT0_PT1_llllllllllllll15HIP_vector_typeIjLj3EESA_SA_SA_SA_,"axG",@progbits,_ZL10k_set_rowsIfi6__halfEvPKT_PKT0_PT1_llllllllllllll15HIP_vector_typeIjLj3EESA_SA_SA_SA_,comdat
.Lfunc_end10:
	.size	_ZL10k_set_rowsIfi6__halfEvPKT_PKT0_PT1_llllllllllllll15HIP_vector_typeIjLj3EESA_SA_SA_SA_, .Lfunc_end10-_ZL10k_set_rowsIfi6__halfEvPKT_PKT0_PT1_llllllllllllll15HIP_vector_typeIjLj3EESA_SA_SA_SA_
                                        ; -- End function
	.set _ZL10k_set_rowsIfi6__halfEvPKT_PKT0_PT1_llllllllllllll15HIP_vector_typeIjLj3EESA_SA_SA_SA_.num_vgpr, 16
	.set _ZL10k_set_rowsIfi6__halfEvPKT_PKT0_PT1_llllllllllllll15HIP_vector_typeIjLj3EESA_SA_SA_SA_.num_agpr, 0
	.set _ZL10k_set_rowsIfi6__halfEvPKT_PKT0_PT1_llllllllllllll15HIP_vector_typeIjLj3EESA_SA_SA_SA_.numbered_sgpr, 47
	.set _ZL10k_set_rowsIfi6__halfEvPKT_PKT0_PT1_llllllllllllll15HIP_vector_typeIjLj3EESA_SA_SA_SA_.num_named_barrier, 0
	.set _ZL10k_set_rowsIfi6__halfEvPKT_PKT0_PT1_llllllllllllll15HIP_vector_typeIjLj3EESA_SA_SA_SA_.private_seg_size, 0
	.set _ZL10k_set_rowsIfi6__halfEvPKT_PKT0_PT1_llllllllllllll15HIP_vector_typeIjLj3EESA_SA_SA_SA_.uses_vcc, 0
	.set _ZL10k_set_rowsIfi6__halfEvPKT_PKT0_PT1_llllllllllllll15HIP_vector_typeIjLj3EESA_SA_SA_SA_.uses_flat_scratch, 0
	.set _ZL10k_set_rowsIfi6__halfEvPKT_PKT0_PT1_llllllllllllll15HIP_vector_typeIjLj3EESA_SA_SA_SA_.has_dyn_sized_stack, 0
	.set _ZL10k_set_rowsIfi6__halfEvPKT_PKT0_PT1_llllllllllllll15HIP_vector_typeIjLj3EESA_SA_SA_SA_.has_recursion, 0
	.set _ZL10k_set_rowsIfi6__halfEvPKT_PKT0_PT1_llllllllllllll15HIP_vector_typeIjLj3EESA_SA_SA_SA_.has_indirect_call, 0
	.section	.AMDGPU.csdata,"",@progbits
; Kernel info:
; codeLenInByte = 564
; TotalNumSgprs: 47
; NumVgprs: 16
; ScratchSize: 0
; MemoryBound: 0
; FloatMode: 240
; IeeeMode: 1
; LDSByteSize: 0 bytes/workgroup (compile time only)
; SGPRBlocks: 0
; VGPRBlocks: 0
; NumSGPRsForWavesPerEU: 47
; NumVGPRsForWavesPerEU: 16
; NamedBarCnt: 0
; Occupancy: 16
; WaveLimiterHint : 1
; COMPUTE_PGM_RSRC2:SCRATCH_EN: 0
; COMPUTE_PGM_RSRC2:USER_SGPR: 2
; COMPUTE_PGM_RSRC2:TRAP_HANDLER: 0
; COMPUTE_PGM_RSRC2:TGID_X_EN: 1
; COMPUTE_PGM_RSRC2:TGID_Y_EN: 0
; COMPUTE_PGM_RSRC2:TGID_Z_EN: 0
; COMPUTE_PGM_RSRC2:TIDIG_COMP_CNT: 0
	.section	.text._ZL10k_set_rowsIfi14__hip_bfloat16EvPKT_PKT0_PT1_llllllllllllll15HIP_vector_typeIjLj3EESA_SA_SA_SA_,"axG",@progbits,_ZL10k_set_rowsIfi14__hip_bfloat16EvPKT_PKT0_PT1_llllllllllllll15HIP_vector_typeIjLj3EESA_SA_SA_SA_,comdat
	.globl	_ZL10k_set_rowsIfi14__hip_bfloat16EvPKT_PKT0_PT1_llllllllllllll15HIP_vector_typeIjLj3EESA_SA_SA_SA_ ; -- Begin function _ZL10k_set_rowsIfi14__hip_bfloat16EvPKT_PKT0_PT1_llllllllllllll15HIP_vector_typeIjLj3EESA_SA_SA_SA_
	.p2align	8
	.type	_ZL10k_set_rowsIfi14__hip_bfloat16EvPKT_PKT0_PT1_llllllllllllll15HIP_vector_typeIjLj3EESA_SA_SA_SA_,@function
_ZL10k_set_rowsIfi14__hip_bfloat16EvPKT_PKT0_PT1_llllllllllllll15HIP_vector_typeIjLj3EESA_SA_SA_SA_: ; @_ZL10k_set_rowsIfi14__hip_bfloat16EvPKT_PKT0_PT1_llllllllllllll15HIP_vector_typeIjLj3EESA_SA_SA_SA_
; %bb.0:
	s_load_b32 s2, s[0:1], 0xd4
	s_bfe_u32 s4, ttmp6, 0x4000c
	s_load_b256 s[20:27], s[0:1], 0x0
	s_add_co_i32 s4, s4, 1
	s_and_b32 s3, ttmp6, 15
	s_mul_i32 s4, ttmp9, s4
	s_getreg_b32 s5, hwreg(HW_REG_IB_STS2, 6, 4)
	v_mov_b32_e32 v1, 0
	s_add_co_i32 s3, s3, s4
	s_wait_kmcnt 0x0
	s_and_b32 s2, s2, 0xffff
	s_cmp_eq_u32 s5, 0
	s_cselect_b32 s3, ttmp9, s3
	s_delay_alu instid0(SALU_CYCLE_1) | instskip(SKIP_2) | instid1(VALU_DEP_1)
	v_mad_nc_u64_u32 v[2:3], s2, s3, v[0:1]
	s_mov_b32 s3, 0
	s_mov_b32 s2, exec_lo
	v_cmpx_gt_i64_e64 s[26:27], v[2:3]
	s_cbranch_execz .LBB11_2
; %bb.1:
	s_load_b256 s[36:43], s[0:1], 0x88
	v_mov_b32_e32 v3, v1
	s_clause 0x2
	s_load_b128 s[28:31], s[0:1], 0xa8
	s_load_b96 s[44:46], s[0:1], 0xb8
	s_load_b512 s[4:19], s[0:1], 0x40
	v_mov_b32_e32 v15, v1
	s_wait_xcnt 0x0
	s_load_b64 s[0:1], s[0:1], 0x80
	s_wait_kmcnt 0x0
	s_mov_b32 s2, s36
	s_delay_alu instid0(SALU_CYCLE_1) | instskip(NEXT) | instid1(VALU_DEP_1)
	v_mul_u64_e32 v[4:5], s[2:3], v[2:3]
	v_add_nc_u32_e32 v0, v5, v2
	s_delay_alu instid0(VALU_DEP_1) | instskip(NEXT) | instid1(VALU_DEP_1)
	v_lshrrev_b32_e32 v0, s37, v0
	v_mul_hi_u32 v3, v0, s39
	s_delay_alu instid0(VALU_DEP_1) | instskip(NEXT) | instid1(VALU_DEP_1)
	v_add_nc_u32_e32 v3, v0, v3
	v_lshrrev_b32_e32 v3, s40, v3
	s_delay_alu instid0(VALU_DEP_1) | instskip(NEXT) | instid1(VALU_DEP_1)
	v_mul_hi_u32 v4, v3, s42
	v_add_nc_u32_e32 v4, v3, v4
	s_delay_alu instid0(VALU_DEP_1) | instskip(NEXT) | instid1(VALU_DEP_1)
	v_lshrrev_b32_e32 v4, s43, v4
	v_mul_lo_u32 v5, v4, s28
	v_mul_hi_u32 v7, v4, s44
	s_delay_alu instid0(VALU_DEP_1) | instskip(SKIP_2) | instid1(VALU_DEP_3)
	v_dual_sub_nc_u32 v6, v3, v5 :: v_dual_add_nc_u32 v7, v4, v7
	v_mul_lo_u32 v3, v3, s41
	v_mov_b32_e32 v9, v1
	v_mul_hi_u32 v5, v6, s29
	s_delay_alu instid0(VALU_DEP_4) | instskip(NEXT) | instid1(VALU_DEP_1)
	v_lshrrev_b32_e32 v7, s45, v7
	v_mul_lo_u32 v7, v7, s46
	v_sub_nc_u32_e32 v8, v0, v3
	v_mul_lo_u32 v0, v0, s38
	v_add_nc_u32_e32 v5, v6, v5
	s_delay_alu instid0(VALU_DEP_3) | instskip(SKIP_1) | instid1(VALU_DEP_3)
	v_mul_u64_e32 v[12:13], s[10:11], v[8:9]
	v_mul_u64_e32 v[8:9], s[4:5], v[8:9]
	v_dual_lshrrev_b32 v5, s30, v5 :: v_dual_sub_nc_u32 v14, v4, v7
	v_mov_b32_e32 v7, v1
	s_delay_alu instid0(VALU_DEP_2) | instskip(SKIP_1) | instid1(VALU_DEP_4)
	v_mul_lo_u32 v5, v5, s31
	v_mov_b32_e32 v11, v1
	v_mul_u64_e32 v[14:15], s[14:15], v[14:15]
	s_delay_alu instid0(VALU_DEP_3) | instskip(NEXT) | instid1(VALU_DEP_1)
	v_dual_mov_b32 v5, v1 :: v_dual_sub_nc_u32 v10, v6, v5
	v_mul_u64_e32 v[10:11], s[12:13], v[10:11]
	v_lshl_add_u64 v[12:13], v[12:13], 2, s[22:23]
	v_lshl_add_u64 v[8:9], v[8:9], 2, s[20:21]
	s_delay_alu instid0(VALU_DEP_2) | instskip(SKIP_2) | instid1(VALU_DEP_3)
	v_lshl_add_u64 v[10:11], v[10:11], 2, v[12:13]
	v_mul_u64_e32 v[12:13], s[6:7], v[6:7]
	v_mul_u64_e32 v[6:7], s[18:19], v[6:7]
	v_lshl_add_u64 v[10:11], v[14:15], 2, v[10:11]
	v_mul_u64_e32 v[14:15], s[8:9], v[4:5]
	v_mul_u64_e32 v[4:5], s[0:1], v[4:5]
	global_load_b32 v10, v[10:11], off
	v_sub_nc_u32_e32 v0, v2, v0
	v_lshl_add_u64 v[8:9], v[12:13], 2, v[8:9]
	s_delay_alu instid0(VALU_DEP_1) | instskip(SKIP_2) | instid1(VALU_DEP_2)
	v_lshl_add_u64 v[2:3], v[14:15], 2, v[8:9]
	s_wait_loadcnt 0x0
	v_ashrrev_i32_e32 v11, 31, v10
	v_lshl_add_u64 v[2:3], v[0:1], 2, v[2:3]
	global_load_b32 v8, v[2:3], off
	s_wait_xcnt 0x0
	v_mul_u64_e32 v[2:3], s[16:17], v[10:11]
	s_delay_alu instid0(VALU_DEP_1) | instskip(NEXT) | instid1(VALU_DEP_1)
	v_lshl_add_u64 v[2:3], v[2:3], 1, s[24:25]
	v_lshl_add_u64 v[2:3], v[6:7], 1, v[2:3]
	s_delay_alu instid0(VALU_DEP_1) | instskip(NEXT) | instid1(VALU_DEP_1)
	v_lshl_add_u64 v[2:3], v[4:5], 1, v[2:3]
	v_lshl_add_u64 v[0:1], v[0:1], 1, v[2:3]
	s_wait_loadcnt 0x0
	v_cvt_pk_bf16_f32 v4, v8, s0
	global_store_b16 v[0:1], v4, off
.LBB11_2:
	s_endpgm
	.section	.rodata,"a",@progbits
	.p2align	6, 0x0
	.amdhsa_kernel _ZL10k_set_rowsIfi14__hip_bfloat16EvPKT_PKT0_PT1_llllllllllllll15HIP_vector_typeIjLj3EESA_SA_SA_SA_
		.amdhsa_group_segment_fixed_size 0
		.amdhsa_private_segment_fixed_size 0
		.amdhsa_kernarg_size 456
		.amdhsa_user_sgpr_count 2
		.amdhsa_user_sgpr_dispatch_ptr 0
		.amdhsa_user_sgpr_queue_ptr 0
		.amdhsa_user_sgpr_kernarg_segment_ptr 1
		.amdhsa_user_sgpr_dispatch_id 0
		.amdhsa_user_sgpr_kernarg_preload_length 0
		.amdhsa_user_sgpr_kernarg_preload_offset 0
		.amdhsa_user_sgpr_private_segment_size 0
		.amdhsa_wavefront_size32 1
		.amdhsa_uses_dynamic_stack 0
		.amdhsa_enable_private_segment 0
		.amdhsa_system_sgpr_workgroup_id_x 1
		.amdhsa_system_sgpr_workgroup_id_y 0
		.amdhsa_system_sgpr_workgroup_id_z 0
		.amdhsa_system_sgpr_workgroup_info 0
		.amdhsa_system_vgpr_workitem_id 0
		.amdhsa_next_free_vgpr 16
		.amdhsa_next_free_sgpr 47
		.amdhsa_named_barrier_count 0
		.amdhsa_reserve_vcc 0
		.amdhsa_float_round_mode_32 0
		.amdhsa_float_round_mode_16_64 0
		.amdhsa_float_denorm_mode_32 3
		.amdhsa_float_denorm_mode_16_64 3
		.amdhsa_fp16_overflow 0
		.amdhsa_memory_ordered 1
		.amdhsa_forward_progress 1
		.amdhsa_inst_pref_size 5
		.amdhsa_round_robin_scheduling 0
		.amdhsa_exception_fp_ieee_invalid_op 0
		.amdhsa_exception_fp_denorm_src 0
		.amdhsa_exception_fp_ieee_div_zero 0
		.amdhsa_exception_fp_ieee_overflow 0
		.amdhsa_exception_fp_ieee_underflow 0
		.amdhsa_exception_fp_ieee_inexact 0
		.amdhsa_exception_int_div_zero 0
	.end_amdhsa_kernel
	.section	.text._ZL10k_set_rowsIfi14__hip_bfloat16EvPKT_PKT0_PT1_llllllllllllll15HIP_vector_typeIjLj3EESA_SA_SA_SA_,"axG",@progbits,_ZL10k_set_rowsIfi14__hip_bfloat16EvPKT_PKT0_PT1_llllllllllllll15HIP_vector_typeIjLj3EESA_SA_SA_SA_,comdat
.Lfunc_end11:
	.size	_ZL10k_set_rowsIfi14__hip_bfloat16EvPKT_PKT0_PT1_llllllllllllll15HIP_vector_typeIjLj3EESA_SA_SA_SA_, .Lfunc_end11-_ZL10k_set_rowsIfi14__hip_bfloat16EvPKT_PKT0_PT1_llllllllllllll15HIP_vector_typeIjLj3EESA_SA_SA_SA_
                                        ; -- End function
	.set _ZL10k_set_rowsIfi14__hip_bfloat16EvPKT_PKT0_PT1_llllllllllllll15HIP_vector_typeIjLj3EESA_SA_SA_SA_.num_vgpr, 16
	.set _ZL10k_set_rowsIfi14__hip_bfloat16EvPKT_PKT0_PT1_llllllllllllll15HIP_vector_typeIjLj3EESA_SA_SA_SA_.num_agpr, 0
	.set _ZL10k_set_rowsIfi14__hip_bfloat16EvPKT_PKT0_PT1_llllllllllllll15HIP_vector_typeIjLj3EESA_SA_SA_SA_.numbered_sgpr, 47
	.set _ZL10k_set_rowsIfi14__hip_bfloat16EvPKT_PKT0_PT1_llllllllllllll15HIP_vector_typeIjLj3EESA_SA_SA_SA_.num_named_barrier, 0
	.set _ZL10k_set_rowsIfi14__hip_bfloat16EvPKT_PKT0_PT1_llllllllllllll15HIP_vector_typeIjLj3EESA_SA_SA_SA_.private_seg_size, 0
	.set _ZL10k_set_rowsIfi14__hip_bfloat16EvPKT_PKT0_PT1_llllllllllllll15HIP_vector_typeIjLj3EESA_SA_SA_SA_.uses_vcc, 0
	.set _ZL10k_set_rowsIfi14__hip_bfloat16EvPKT_PKT0_PT1_llllllllllllll15HIP_vector_typeIjLj3EESA_SA_SA_SA_.uses_flat_scratch, 0
	.set _ZL10k_set_rowsIfi14__hip_bfloat16EvPKT_PKT0_PT1_llllllllllllll15HIP_vector_typeIjLj3EESA_SA_SA_SA_.has_dyn_sized_stack, 0
	.set _ZL10k_set_rowsIfi14__hip_bfloat16EvPKT_PKT0_PT1_llllllllllllll15HIP_vector_typeIjLj3EESA_SA_SA_SA_.has_recursion, 0
	.set _ZL10k_set_rowsIfi14__hip_bfloat16EvPKT_PKT0_PT1_llllllllllllll15HIP_vector_typeIjLj3EESA_SA_SA_SA_.has_indirect_call, 0
	.section	.AMDGPU.csdata,"",@progbits
; Kernel info:
; codeLenInByte = 568
; TotalNumSgprs: 47
; NumVgprs: 16
; ScratchSize: 0
; MemoryBound: 0
; FloatMode: 240
; IeeeMode: 1
; LDSByteSize: 0 bytes/workgroup (compile time only)
; SGPRBlocks: 0
; VGPRBlocks: 0
; NumSGPRsForWavesPerEU: 47
; NumVGPRsForWavesPerEU: 16
; NamedBarCnt: 0
; Occupancy: 16
; WaveLimiterHint : 1
; COMPUTE_PGM_RSRC2:SCRATCH_EN: 0
; COMPUTE_PGM_RSRC2:USER_SGPR: 2
; COMPUTE_PGM_RSRC2:TRAP_HANDLER: 0
; COMPUTE_PGM_RSRC2:TGID_X_EN: 1
; COMPUTE_PGM_RSRC2:TGID_Y_EN: 0
; COMPUTE_PGM_RSRC2:TGID_Z_EN: 0
; COMPUTE_PGM_RSRC2:TIDIG_COMP_CNT: 0
	.section	.text._ZL16k_set_rows_quantIi10block_q4_0Li32ETnPFvPKfPT0_EXadL_ZL23quantize_f32_q4_0_blockS2_PS0_EEEvS2_PKT_S4_llllllllllllll15HIP_vector_typeIjLj3EESC_SC_SC_SC_,"axG",@progbits,_ZL16k_set_rows_quantIi10block_q4_0Li32ETnPFvPKfPT0_EXadL_ZL23quantize_f32_q4_0_blockS2_PS0_EEEvS2_PKT_S4_llllllllllllll15HIP_vector_typeIjLj3EESC_SC_SC_SC_,comdat
	.globl	_ZL16k_set_rows_quantIi10block_q4_0Li32ETnPFvPKfPT0_EXadL_ZL23quantize_f32_q4_0_blockS2_PS0_EEEvS2_PKT_S4_llllllllllllll15HIP_vector_typeIjLj3EESC_SC_SC_SC_ ; -- Begin function _ZL16k_set_rows_quantIi10block_q4_0Li32ETnPFvPKfPT0_EXadL_ZL23quantize_f32_q4_0_blockS2_PS0_EEEvS2_PKT_S4_llllllllllllll15HIP_vector_typeIjLj3EESC_SC_SC_SC_
	.p2align	8
	.type	_ZL16k_set_rows_quantIi10block_q4_0Li32ETnPFvPKfPT0_EXadL_ZL23quantize_f32_q4_0_blockS2_PS0_EEEvS2_PKT_S4_llllllllllllll15HIP_vector_typeIjLj3EESC_SC_SC_SC_,@function
_ZL16k_set_rows_quantIi10block_q4_0Li32ETnPFvPKfPT0_EXadL_ZL23quantize_f32_q4_0_blockS2_PS0_EEEvS2_PKT_S4_llllllllllllll15HIP_vector_typeIjLj3EESC_SC_SC_SC_: ; @_ZL16k_set_rows_quantIi10block_q4_0Li32ETnPFvPKfPT0_EXadL_ZL23quantize_f32_q4_0_blockS2_PS0_EEEvS2_PKT_S4_llllllllllllll15HIP_vector_typeIjLj3EESC_SC_SC_SC_
; %bb.0:
	s_clause 0x1
	s_load_b32 s4, s[0:1], 0xd4
	s_load_b64 s[2:3], s[0:1], 0x18
	s_bfe_u32 s5, ttmp6, 0x4000c
	s_and_b32 s6, ttmp6, 15
	s_add_co_i32 s5, s5, 1
	s_getreg_b32 s7, hwreg(HW_REG_IB_STS2, 6, 4)
	s_mul_i32 s5, ttmp9, s5
	v_mov_b32_e32 v1, 0
	s_add_co_i32 s6, s6, s5
	s_wait_kmcnt 0x0
	s_and_b32 s4, s4, 0xffff
	s_cmp_eq_u32 s7, 0
	s_cselect_b32 s5, ttmp9, s6
	s_delay_alu instid0(SALU_CYCLE_1) | instskip(NEXT) | instid1(VALU_DEP_1)
	v_mad_nc_u64_u32 v[2:3], s4, s5, v[0:1]
	v_cmp_gt_i64_e32 vcc_lo, s[2:3], v[2:3]
	s_and_saveexec_b32 s2, vcc_lo
	s_cbranch_execz .LBB12_2
; %bb.1:
	s_load_b256 s[20:27], s[0:1], 0x88
	v_lshlrev_b32_e32 v0, 5, v2
	s_clause 0x1
	s_load_b128 s[28:31], s[0:1], 0xa8
	s_load_b512 s[4:19], s[0:1], 0x40
	v_dual_mov_b32 v11, v1 :: v_dual_mov_b32 v35, v1
	v_mov_b32_e32 v37, v1
	s_load_b64 s[2:3], s[0:1], 0x10
	v_mov_b32_e32 v19, v1
	s_wait_kmcnt 0x0
	v_mul_hi_u32 v2, s20, v0
	s_delay_alu instid0(VALU_DEP_1) | instskip(NEXT) | instid1(VALU_DEP_1)
	v_add_nc_u32_e32 v2, v0, v2
	v_lshrrev_b32_e32 v8, s21, v2
	s_delay_alu instid0(VALU_DEP_1) | instskip(NEXT) | instid1(VALU_DEP_1)
	v_mul_hi_u32 v2, v8, s23
	v_add_nc_u32_e32 v2, v8, v2
	s_delay_alu instid0(VALU_DEP_1) | instskip(NEXT) | instid1(VALU_DEP_1)
	v_lshrrev_b32_e32 v4, s24, v2
	v_mul_hi_u32 v2, v4, s26
	s_delay_alu instid0(VALU_DEP_1) | instskip(NEXT) | instid1(VALU_DEP_1)
	v_add_nc_u32_e32 v2, v4, v2
	v_lshrrev_b32_e32 v36, s27, v2
	v_mul_lo_u32 v3, v4, s25
	s_delay_alu instid0(VALU_DEP_2) | instskip(SKIP_1) | instid1(VALU_DEP_3)
	v_mul_lo_u32 v5, v36, s28
	v_mul_u64_e32 v[6:7], s[8:9], v[36:37]
	v_sub_nc_u32_e32 v10, v8, v3
	v_mul_lo_u32 v8, v8, s22
	s_load_b96 s[20:22], s[0:1], 0xb8
	s_delay_alu instid0(VALU_DEP_4) | instskip(NEXT) | instid1(VALU_DEP_3)
	v_sub_nc_u32_e32 v34, v4, v5
	v_mul_u64_e32 v[2:3], s[4:5], v[10:11]
	v_mul_u64_e32 v[10:11], s[10:11], v[10:11]
	s_delay_alu instid0(VALU_DEP_3)
	v_mul_u64_e32 v[4:5], s[6:7], v[34:35]
	s_load_b128 s[4:7], s[0:1], 0x0
	v_sub_nc_u32_e32 v0, v0, v8
	s_wait_xcnt 0x0
	s_load_b64 s[0:1], s[0:1], 0x80
	s_wait_kmcnt 0x0
	s_delay_alu instid0(VALU_DEP_4) | instskip(NEXT) | instid1(VALU_DEP_4)
	v_lshl_add_u64 v[2:3], v[2:3], 2, s[4:5]
	v_lshl_add_u64 v[10:11], v[10:11], 2, s[6:7]
	s_delay_alu instid0(VALU_DEP_2) | instskip(NEXT) | instid1(VALU_DEP_1)
	v_lshl_add_u64 v[2:3], v[4:5], 2, v[2:3]
	v_lshl_add_u64 v[2:3], v[6:7], 2, v[2:3]
	s_delay_alu instid0(VALU_DEP_1)
	v_lshl_add_u64 v[38:39], v[0:1], 2, v[2:3]
	s_clause 0x2
	global_load_b128 v[22:25], v[38:39], off
	global_load_b128 v[14:17], v[38:39], off offset:16
	global_load_b128 v[6:9], v[38:39], off offset:32
	v_mul_hi_u32 v2, v34, s29
	v_mul_hi_u32 v3, v36, s20
	global_load_b128 v[30:33], v[38:39], off offset:64
	v_dual_add_nc_u32 v2, v34, v2 :: v_dual_add_nc_u32 v12, v36, v3
	s_delay_alu instid0(VALU_DEP_1) | instskip(NEXT) | instid1(VALU_DEP_2)
	v_dual_lshrrev_b32 v0, 5, v0 :: v_dual_lshrrev_b32 v13, s30, v2
	v_lshrrev_b32_e32 v12, s21, v12
	global_load_b128 v[2:5], v[38:39], off offset:48
	v_mul_lo_u32 v18, v13, s31
	v_mov_b32_e32 v13, v1
	v_mul_lo_u32 v20, v12, s22
	s_delay_alu instid0(VALU_DEP_3) | instskip(NEXT) | instid1(VALU_DEP_1)
	v_sub_nc_u32_e32 v12, v34, v18
	v_mul_u64_e32 v[12:13], s[12:13], v[12:13]
	s_delay_alu instid0(VALU_DEP_1) | instskip(SKIP_3) | instid1(VALU_DEP_1)
	v_lshl_add_u64 v[10:11], v[12:13], 2, v[10:11]
	s_wait_loadcnt 0x4
	v_cmp_lg_f32_e32 vcc_lo, 0, v22
	v_dual_cndmask_b32 v35, 0, v22 :: v_dual_sub_nc_u32 v18, v36, v20
	v_mul_u64_e32 v[18:19], s[14:15], v[18:19]
	v_cndmask_b32_e64 v37, 0, |v22|, vcc_lo
	s_delay_alu instid0(VALU_DEP_1) | instskip(NEXT) | instid1(VALU_DEP_1)
	v_cmp_lt_f32_e64 vcc_lo, v37, |v23|
	v_cndmask_b32_e64 v37, v37, |v23|, vcc_lo
	s_delay_alu instid0(VALU_DEP_4)
	v_lshl_add_u64 v[40:41], v[18:19], 2, v[10:11]
	global_load_b32 v42, v[40:41], off
	s_clause 0x2
	global_load_b128 v[26:29], v[38:39], off offset:80
	global_load_b128 v[18:21], v[38:39], off offset:96
	;; [unrolled: 1-line block ×3, first 2 shown]
	v_cndmask_b32_e32 v35, v35, v23, vcc_lo
	v_cmp_lt_f32_e64 vcc_lo, v37, |v24|
	s_wait_xcnt 0x3
	v_mov_b32_e32 v41, v1
	s_delay_alu instid0(VALU_DEP_2) | instskip(SKIP_2) | instid1(VALU_DEP_2)
	v_cndmask_b32_e64 v37, v37, |v24|, vcc_lo
	s_wait_loadcnt 0x3
	v_dual_ashrrev_i32 v43, 31, v42 :: v_dual_cndmask_b32 v35, v35, v24, vcc_lo
	v_cmp_lt_f32_e64 vcc_lo, v37, |v25|
	s_wait_xcnt 0x0
	s_delay_alu instid0(VALU_DEP_2) | instskip(NEXT) | instid1(VALU_DEP_2)
	v_mul_u64_e32 v[38:39], s[16:17], v[42:43]
	v_cndmask_b32_e64 v37, v37, |v25|, vcc_lo
	v_cndmask_b32_e32 v35, v35, v25, vcc_lo
	s_delay_alu instid0(VALU_DEP_2) | instskip(NEXT) | instid1(VALU_DEP_1)
	v_cmp_lt_f32_e64 vcc_lo, v37, |v14|
	v_cndmask_b32_e64 v37, v37, |v14|, vcc_lo
	s_delay_alu instid0(VALU_DEP_3) | instskip(NEXT) | instid1(VALU_DEP_2)
	v_cndmask_b32_e32 v35, v35, v14, vcc_lo
	v_cmp_lt_f32_e64 vcc_lo, v37, |v15|
	s_delay_alu instid0(VALU_DEP_1) | instskip(NEXT) | instid1(VALU_DEP_3)
	v_cndmask_b32_e64 v37, v37, |v15|, vcc_lo
	v_cndmask_b32_e32 v35, v35, v15, vcc_lo
	s_delay_alu instid0(VALU_DEP_2) | instskip(NEXT) | instid1(VALU_DEP_1)
	v_cmp_lt_f32_e64 vcc_lo, v37, |v16|
	v_cndmask_b32_e64 v37, v37, |v16|, vcc_lo
	s_delay_alu instid0(VALU_DEP_3) | instskip(SKIP_1) | instid1(VALU_DEP_3)
	v_cndmask_b32_e32 v35, v35, v16, vcc_lo
	v_mad_nc_u64_u32 v[38:39], s0, v36, v[38:39]
	v_cmp_lt_f32_e64 vcc_lo, v37, |v17|
	s_delay_alu instid0(VALU_DEP_1) | instskip(NEXT) | instid1(VALU_DEP_4)
	v_cndmask_b32_e64 v37, v37, |v17|, vcc_lo
	v_cndmask_b32_e32 v35, v35, v17, vcc_lo
	s_delay_alu instid0(VALU_DEP_4) | instskip(SKIP_1) | instid1(VALU_DEP_3)
	v_mad_u32 v39, s1, v36, v39
	s_mov_b64 s[0:1], 0x8e38e38f
	v_cmp_lt_f32_e64 vcc_lo, v37, |v6|
	s_delay_alu instid0(VALU_DEP_1) | instskip(SKIP_1) | instid1(VALU_DEP_2)
	v_cndmask_b32_e64 v37, v37, |v6|, vcc_lo
	v_cndmask_b32_e32 v35, v35, v6, vcc_lo
	v_cmp_lt_f32_e64 vcc_lo, v37, |v7|
	s_delay_alu instid0(VALU_DEP_1) | instskip(NEXT) | instid1(VALU_DEP_3)
	v_cndmask_b32_e64 v37, v37, |v7|, vcc_lo
	v_cndmask_b32_e32 v35, v35, v7, vcc_lo
	s_delay_alu instid0(VALU_DEP_2) | instskip(NEXT) | instid1(VALU_DEP_1)
	v_cmp_lt_f32_e64 vcc_lo, v37, |v8|
	v_cndmask_b32_e64 v37, v37, |v8|, vcc_lo
	s_delay_alu instid0(VALU_DEP_3) | instskip(NEXT) | instid1(VALU_DEP_2)
	v_cndmask_b32_e32 v35, v35, v8, vcc_lo
	v_cmp_lt_f32_e64 vcc_lo, v37, |v9|
	s_delay_alu instid0(VALU_DEP_1) | instskip(NEXT) | instid1(VALU_DEP_3)
	v_cndmask_b32_e64 v37, v37, |v9|, vcc_lo
	v_cndmask_b32_e32 v35, v35, v9, vcc_lo
	s_delay_alu instid0(VALU_DEP_2) | instskip(NEXT) | instid1(VALU_DEP_1)
	v_cmp_lt_f32_e64 vcc_lo, v37, |v2|
	v_cndmask_b32_e64 v37, v37, |v2|, vcc_lo
	s_delay_alu instid0(VALU_DEP_3) | instskip(NEXT) | instid1(VALU_DEP_2)
	;; [unrolled: 9-line block ×5, first 2 shown]
	v_cndmask_b32_e32 v35, v35, v32, vcc_lo
	v_cmp_lt_f32_e64 vcc_lo, v37, |v33|
	s_delay_alu instid0(VALU_DEP_1) | instskip(NEXT) | instid1(VALU_DEP_3)
	v_cndmask_b32_e64 v37, v37, |v33|, vcc_lo
	v_cndmask_b32_e32 v35, v35, v33, vcc_lo
	s_wait_loadcnt 0x2
	s_delay_alu instid0(VALU_DEP_2) | instskip(NEXT) | instid1(VALU_DEP_1)
	v_cmp_lt_f32_e64 vcc_lo, v37, |v26|
	v_cndmask_b32_e64 v37, v37, |v26|, vcc_lo
	s_delay_alu instid0(VALU_DEP_3) | instskip(NEXT) | instid1(VALU_DEP_2)
	v_cndmask_b32_e32 v35, v35, v26, vcc_lo
	v_cmp_lt_f32_e64 vcc_lo, v37, |v27|
	s_delay_alu instid0(VALU_DEP_1) | instskip(NEXT) | instid1(VALU_DEP_3)
	v_cndmask_b32_e64 v37, v37, |v27|, vcc_lo
	v_cndmask_b32_e32 v35, v35, v27, vcc_lo
	s_delay_alu instid0(VALU_DEP_2) | instskip(NEXT) | instid1(VALU_DEP_1)
	v_cmp_lt_f32_e64 vcc_lo, v37, |v28|
	v_cndmask_b32_e64 v37, v37, |v28|, vcc_lo
	s_delay_alu instid0(VALU_DEP_3) | instskip(NEXT) | instid1(VALU_DEP_2)
	v_cndmask_b32_e32 v35, v35, v28, vcc_lo
	v_cmp_lt_f32_e64 vcc_lo, v37, |v29|
	s_delay_alu instid0(VALU_DEP_1) | instskip(SKIP_1) | instid1(VALU_DEP_4)
	v_cndmask_b32_e64 v40, v37, |v29|, vcc_lo
	v_mad_nc_u64_u32 v[36:37], s18, v34, v[38:39]
	v_cndmask_b32_e32 v35, v35, v29, vcc_lo
	s_wait_loadcnt 0x1
	s_delay_alu instid0(VALU_DEP_3) | instskip(NEXT) | instid1(VALU_DEP_1)
	v_cmp_lt_f32_e64 vcc_lo, v40, |v18|
	v_cndmask_b32_e64 v38, v40, |v18|, vcc_lo
	s_delay_alu instid0(VALU_DEP_3) | instskip(SKIP_2) | instid1(VALU_DEP_4)
	v_cndmask_b32_e32 v35, v35, v18, vcc_lo
	v_mad_u32 v42, s19, v34, v37
	v_mov_b32_e32 v37, v1
	v_cmp_lt_f32_e64 vcc_lo, v38, |v19|
	s_delay_alu instid0(VALU_DEP_4) | instskip(NEXT) | instid1(VALU_DEP_3)
	v_cndmask_b32_e32 v39, v35, v19, vcc_lo
	v_mul_u64_e32 v[34:35], s[0:1], v[36:37]
	s_delay_alu instid0(VALU_DEP_3) | instskip(SKIP_1) | instid1(VALU_DEP_1)
	v_cndmask_b32_e64 v38, v38, |v19|, vcc_lo
	s_mov_b32 s0, 0xbe000000
	v_cmp_lt_f32_e64 vcc_lo, v38, |v20|
	s_delay_alu instid0(VALU_DEP_1) | instskip(NEXT) | instid1(VALU_DEP_4)
	v_cndmask_b32_e64 v37, v38, |v20|, vcc_lo
	v_mov_b32_e32 v38, v35
	v_dual_cndmask_b32 v34, v39, v20 :: v_dual_mov_b32 v39, v1
	s_delay_alu instid0(VALU_DEP_3) | instskip(NEXT) | instid1(VALU_DEP_2)
	v_cmp_lt_f32_e64 vcc_lo, v37, |v21|
	v_mad_nc_u64_u32 v[38:39], 0x8e38e38f, v42, v[38:39]
	s_delay_alu instid0(VALU_DEP_2) | instskip(NEXT) | instid1(VALU_DEP_2)
	v_cndmask_b32_e64 v37, v37, |v21|, vcc_lo
	v_dual_mov_b32 v40, v39 :: v_dual_cndmask_b32 v34, v34, v21, vcc_lo
	s_wait_loadcnt 0x0
	s_delay_alu instid0(VALU_DEP_2) | instskip(SKIP_1) | instid1(VALU_DEP_2)
	v_cmp_lt_f32_e64 vcc_lo, v37, |v10|
	v_mov_b32_e32 v39, v1
	v_cndmask_b32_e64 v37, v37, |v10|, vcc_lo
	v_cndmask_b32_e32 v34, v34, v10, vcc_lo
	s_delay_alu instid0(VALU_DEP_2) | instskip(NEXT) | instid1(VALU_DEP_1)
	v_cmp_lt_f32_e64 vcc_lo, v37, |v11|
	v_cndmask_b32_e64 v35, v37, |v11|, vcc_lo
	s_delay_alu instid0(VALU_DEP_3) | instskip(SKIP_1) | instid1(VALU_DEP_3)
	v_cndmask_b32_e32 v34, v34, v11, vcc_lo
	v_mad_nc_u64_u32 v[36:37], 0xe38e38e3, v36, v[38:39]
	v_cmp_lt_f32_e64 vcc_lo, v35, |v12|
	s_delay_alu instid0(VALU_DEP_1) | instskip(NEXT) | instid1(VALU_DEP_3)
	v_cndmask_b32_e64 v35, v35, |v12|, vcc_lo
	v_dual_cndmask_b32 v34, v34, v12, vcc_lo :: v_dual_mov_b32 v38, v37
	s_delay_alu instid0(VALU_DEP_2) | instskip(NEXT) | instid1(VALU_DEP_2)
	v_cmp_lt_f32_e64 vcc_lo, v35, |v13|
	v_add_nc_u64_e32 v[36:37], v[40:41], v[38:39]
	s_delay_alu instid0(VALU_DEP_3) | instskip(NEXT) | instid1(VALU_DEP_1)
	v_cndmask_b32_e32 v34, v34, v13, vcc_lo
	v_mul_f32_e32 v35, 0xbe000000, v34
	s_delay_alu instid0(VALU_DEP_3) | instskip(NEXT) | instid1(VALU_DEP_2)
	v_mad_nc_u64_u32 v[36:37], 0xe38e38e3, v42, v[36:37]
	v_div_scale_f32 v43, null, v35, v35, 1.0
	v_div_scale_f32 v40, vcc_lo, 1.0, v35, 1.0
	s_delay_alu instid0(VALU_DEP_2) | instskip(NEXT) | instid1(VALU_DEP_3)
	v_rcp_f32_e32 v1, v43
	v_alignbit_b32 v36, v37, v36, 4
	v_lshrrev_b32_e32 v37, 4, v37
	s_delay_alu instid0(TRANS32_DEP_1) | instskip(NEXT) | instid1(VALU_DEP_1)
	v_fma_f32 v38, -v43, v1, 1.0
	v_fmac_f32_e32 v1, v38, v1
	s_delay_alu instid0(VALU_DEP_1) | instskip(NEXT) | instid1(VALU_DEP_1)
	v_mul_f32_e32 v41, v40, v1
	v_fma_f32 v38, -v43, v41, v40
	s_delay_alu instid0(VALU_DEP_1) | instskip(SKIP_1) | instid1(VALU_DEP_2)
	v_fmac_f32_e32 v41, v38, v1
	v_mad_nc_u64_u32 v[38:39], v36, 18, s[2:3]
	v_fma_f32 v36, -v43, v41, v40
	s_delay_alu instid0(VALU_DEP_1) | instskip(SKIP_1) | instid1(VALU_DEP_4)
	v_div_fmas_f32 v1, v36, v1, v41
	v_cmp_neq_f32_e32 vcc_lo, 0, v35
	v_mad_u32 v39, v37, 18, v39
	s_delay_alu instid0(VALU_DEP_3) | instskip(NEXT) | instid1(VALU_DEP_1)
	v_div_fixup_f32 v1, v1, v35, 1.0
	v_cndmask_b32_e32 v35, 0, v1, vcc_lo
	s_delay_alu instid0(VALU_DEP_3) | instskip(NEXT) | instid1(VALU_DEP_2)
	v_mad_nc_u64_u32 v[0:1], v0, 18, v[38:39]
	v_dual_fmaak_f32 v30, v30, v35, 0x41080000 :: v_dual_fmaak_f32 v31, v31, v35, 0x41080000
	v_dual_fmaak_f32 v21, v21, v35, 0x41080000 :: v_dual_fmaak_f32 v40, v2, v35, 0x41080000
	;; [unrolled: 1-line block ×3, first 2 shown]
	s_delay_alu instid0(VALU_DEP_3) | instskip(SKIP_2) | instid1(VALU_DEP_3)
	v_cvt_i32_f32_e32 v2, v30
	v_dual_fmaak_f32 v32, v32, v35, 0x41080000 :: v_dual_fmaak_f32 v33, v33, v35, 0x41080000
	v_dual_fmaak_f32 v36, v14, v35, 0x41080000 :: v_dual_fmaak_f32 v27, v27, v35, 0x41080000
	v_cvt_f64_i32_e32 v[2:3], v2
	v_dual_fmaak_f32 v14, v26, v35, 0x41080000 :: v_dual_fmaak_f32 v37, v16, v35, 0x41080000
	v_dual_fmaak_f32 v26, v15, v35, 0x41080000 :: v_dual_fmaak_f32 v15, v28, v35, 0x41080000
	v_dual_fmaak_f32 v28, v17, v35, 0x41080000 :: v_dual_fmaak_f32 v19, v19, v35, 0x41080000
	v_dual_fmaak_f32 v29, v29, v35, 0x41080000 :: v_dual_fmaak_f32 v38, v6, v35, 0x41080000
	v_dual_fmaak_f32 v16, v18, v35, 0x41080000 :: v_dual_fmaak_f32 v39, v8, v35, 0x41080000
	v_dual_fmaak_f32 v18, v7, v35, 0x41080000 :: v_dual_fmaak_f32 v17, v20, v35, 0x41080000
	v_dual_fmaak_f32 v20, v9, v35, 0x41080000 :: v_dual_fmaak_f32 v41, v10, v35, 0x41080000
	v_cvt_i32_f32_e32 v6, v32
	v_fmaak_f32 v32, v4, v35, 0x41080000
	v_cvt_i32_f32_e32 v4, v14
	v_cvt_i32_f32_e32 v10, v15
	;; [unrolled: 1-line block ×4, first 2 shown]
	v_fmaak_f32 v30, v11, v35, 0x41080000
	v_cvt_f64_i32_e32 v[8:9], v4
	v_cvt_i32_f32_e32 v4, v17
	v_cvt_f64_i32_e32 v[6:7], v6
	v_cvt_f64_i32_e32 v[10:11], v10
	;; [unrolled: 1-line block ×3, first 2 shown]
	v_fmaak_f32 v44, v5, v35, 0x41080000
	v_cvt_f64_i32_e32 v[16:17], v4
	v_cvt_f64_i32_e32 v[4:5], v41
	v_dual_fmaak_f32 v22, v22, v35, 0x41080000 :: v_dual_fmaak_f32 v23, v23, v35, 0x41080000
	v_min_num_f64_e32 v[2:3], 0x402e0000, v[2:3]
	v_dual_fmaak_f32 v24, v24, v35, 0x41080000 :: v_dual_fmaak_f32 v25, v25, v35, 0x41080000
	v_fmaak_f32 v35, v13, v35, 0x41080000
	s_delay_alu instid0(VALU_DEP_4)
	v_cvt_i32_f32_e32 v22, v22
	v_cvt_i32_f32_e32 v23, v23
	v_cvt_i32_f32_e32 v31, v31
	v_cvt_i32_f32_e32 v24, v24
	v_cvt_i32_f32_e32 v25, v25
	v_cvt_i32_f32_e32 v33, v33
	v_cvt_i32_f32_e32 v56, v29
	v_cvt_i32_f32_e32 v35, v35
	v_cvt_i32_f32_e32 v54, v36
	v_cvt_i32_f32_e32 v36, v26
	v_cvt_i32_f32_e32 v50, v27
	v_cvt_i32_f32_e32 v45, v18
	v_cvt_i32_f32_e32 v46, v19
	v_cvt_i32_f32_e32 v47, v20
	v_cvt_i32_f32_e32 v48, v21
	v_cvt_i32_f32_e32 v59, v40
	v_cvt_f64_i32_e32 v[18:19], v23
	v_cvt_f64_i32_e32 v[20:21], v31
	v_min_num_f64_e32 v[8:9], 0x402e0000, v[8:9]
	v_cvt_f64_i32_e32 v[26:27], v33
	v_min_num_f64_e32 v[6:7], 0x402e0000, v[6:7]
	v_min_num_f64_e32 v[10:11], 0x402e0000, v[10:11]
	;; [unrolled: 1-line block ×3, first 2 shown]
	v_cvt_f64_i32_e32 v[40:41], v35
	v_min_num_f64_e32 v[14:15], 0x402e0000, v[16:17]
	v_min_num_f64_e32 v[4:5], 0x402e0000, v[4:5]
	v_cvt_f64_i32_e32 v[16:17], v22
	v_cvt_f64_i32_e32 v[22:23], v24
	;; [unrolled: 1-line block ×3, first 2 shown]
	v_cvt_i32_f64_e32 v35, v[2:3]
	v_cvt_f64_i32_e32 v[2:3], v56
	v_cvt_i32_f32_e32 v55, v37
	v_cvt_i32_f32_e32 v57, v38
	;; [unrolled: 1-line block ×8, first 2 shown]
	v_cvt_f64_i32_e32 v[28:29], v36
	v_cvt_f64_i32_e32 v[42:43], v45
	;; [unrolled: 1-line block ×8, first 2 shown]
	v_min_num_f64_e32 v[18:19], 0x402e0000, v[18:19]
	v_min_num_f64_e32 v[20:21], 0x402e0000, v[20:21]
	;; [unrolled: 1-line block ×3, first 2 shown]
	v_cvt_i32_f64_e32 v56, v[6:7]
	v_cvt_f64_i32_e32 v[6:7], v54
	v_cvt_i32_f64_e32 v54, v[8:9]
	v_cvt_f64_i32_e32 v[8:9], v55
	;; [unrolled: 2-line block ×6, first 2 shown]
	v_min_num_f64_e32 v[2:3], 0x402e0000, v[2:3]
	v_min_num_f64_e32 v[24:25], 0x402e0000, v[24:25]
	;; [unrolled: 1-line block ×19, first 2 shown]
	v_cvt_i32_f64_e32 v2, v[2:3]
	v_cvt_i32_f64_e32 v3, v[18:19]
	;; [unrolled: 1-line block ×8, first 2 shown]
	v_lshlrev_b16 v21, 4, v59
	v_cvt_i32_f64_e32 v30, v[30:31]
	v_cvt_i32_f64_e32 v31, v[32:33]
	;; [unrolled: 1-line block ×11, first 2 shown]
	v_lshlrev_b16 v11, 4, v56
	v_cvt_i32_f64_e32 v9, v[12:13]
	v_lshlrev_b16 v12, 4, v54
	v_cvt_i32_f64_e32 v10, v[14:15]
	;; [unrolled: 2-line block ×3, first 2 shown]
	v_lshlrev_b16 v5, 4, v35
	v_lshlrev_b16 v3, 8, v3
	;; [unrolled: 1-line block ×5, first 2 shown]
	v_or_b32_e32 v5, v5, v16
	v_or_b32_e32 v11, v11, v17
	;; [unrolled: 1-line block ×3, first 2 shown]
	v_lshlrev_b16 v14, 4, v57
	v_or_b32_e32 v17, v20, v19
	v_lshlrev_b16 v15, 4, v58
	v_lshlrev_b16 v22, 4, v30
	v_bitop3_b16 v3, v5, v3, 0xff bitop3:0xec
	v_lshlrev_b16 v23, 8, v31
	v_bitop3_b16 v5, v11, v17, 0xff bitop3:0xec
	v_lshlrev_b16 v24, 12, v32
	v_lshlrev_b16 v26, 12, v36
	;; [unrolled: 1-line block ×4, first 2 shown]
	v_lshlrev_b32_e32 v11, 16, v5
	v_cvt_i32_f32_e32 v39, v44
	v_cvt_f64_i32_e32 v[44:45], v46
	v_cvt_f64_i32_e32 v[46:47], v47
	v_lshlrev_b16 v28, 8, v28
	v_lshlrev_b16 v29, 12, v29
	v_cvt_f64_i32_e32 v[38:39], v39
	v_lshlrev_b16 v2, 12, v2
	v_or_b32_e32 v6, v12, v6
	v_or_b32_e32 v7, v13, v7
	;; [unrolled: 1-line block ×8, first 2 shown]
	s_delay_alu instid0(VALU_DEP_2) | instskip(NEXT) | instid1(VALU_DEP_2)
	v_bitop3_b16 v10, v10, v12, 0xff bitop3:0xec
	v_bitop3_b16 v6, v6, v16, 0xff bitop3:0xec
	v_fma_mixlo_f16 v12, v34, s0, 0
	s_delay_alu instid0(VALU_DEP_2) | instskip(SKIP_3) | instid1(VALU_DEP_1)
	v_and_b32_e32 v6, 0xffff, v6
	v_min_num_f64_e32 v[44:45], 0x402e0000, v[44:45]
	v_min_num_f64_e32 v[46:47], 0x402e0000, v[46:47]
	;; [unrolled: 1-line block ×3, first 2 shown]
	v_cvt_i32_f64_e32 v33, v[38:39]
	s_delay_alu instid0(VALU_DEP_4) | instskip(NEXT) | instid1(VALU_DEP_4)
	v_cvt_i32_f64_e32 v38, v[44:45]
	v_cvt_i32_f64_e32 v39, v[46:47]
	s_delay_alu instid0(VALU_DEP_3) | instskip(NEXT) | instid1(VALU_DEP_3)
	v_lshlrev_b16 v25, 8, v33
	v_lshlrev_b16 v30, 12, v38
	s_delay_alu instid0(VALU_DEP_3) | instskip(SKIP_1) | instid1(VALU_DEP_4)
	v_lshlrev_b16 v31, 8, v39
	v_lshlrev_b16 v33, 8, v41
	v_or_b32_e32 v13, v26, v25
	s_delay_alu instid0(VALU_DEP_4) | instskip(NEXT) | instid1(VALU_DEP_4)
	v_or_b32_e32 v14, v30, v27
	v_or_b32_e32 v15, v32, v31
	s_delay_alu instid0(VALU_DEP_4) | instskip(NEXT) | instid1(VALU_DEP_4)
	v_or_b32_e32 v2, v2, v33
	v_bitop3_b16 v4, v4, v13, 0xff bitop3:0xec
	s_delay_alu instid0(VALU_DEP_4) | instskip(NEXT) | instid1(VALU_DEP_4)
	v_bitop3_b16 v8, v8, v14, 0xff bitop3:0xec
	v_bitop3_b16 v9, v9, v15, 0xff bitop3:0xec
	s_delay_alu instid0(VALU_DEP_4) | instskip(SKIP_3) | instid1(VALU_DEP_4)
	v_bitop3_b16 v2, v7, v2, 0xff bitop3:0xec
	v_and_b32_e32 v7, 0xffff, v10
	v_lshlrev_b32_e32 v4, 16, v4
	v_and_b32_e32 v8, 0xffff, v8
	v_dual_lshlrev_b32 v9, 16, v9 :: v_dual_lshlrev_b32 v2, 16, v2
	v_and_b32_e32 v10, 0xffff, v3
	s_delay_alu instid0(VALU_DEP_4) | instskip(NEXT) | instid1(VALU_DEP_3)
	v_or_b32_e32 v5, v7, v4
	v_or_b32_e32 v4, v8, v9
	s_delay_alu instid0(VALU_DEP_4) | instskip(NEXT) | instid1(VALU_DEP_4)
	v_or_b32_e32 v3, v6, v2
	v_or_b32_e32 v2, v10, v11
	s_clause 0x1
	global_store_b16 v[0:1], v12, off
	global_store_b128 v[0:1], v[2:5], off offset:2
.LBB12_2:
	s_endpgm
	.section	.rodata,"a",@progbits
	.p2align	6, 0x0
	.amdhsa_kernel _ZL16k_set_rows_quantIi10block_q4_0Li32ETnPFvPKfPT0_EXadL_ZL23quantize_f32_q4_0_blockS2_PS0_EEEvS2_PKT_S4_llllllllllllll15HIP_vector_typeIjLj3EESC_SC_SC_SC_
		.amdhsa_group_segment_fixed_size 0
		.amdhsa_private_segment_fixed_size 0
		.amdhsa_kernarg_size 456
		.amdhsa_user_sgpr_count 2
		.amdhsa_user_sgpr_dispatch_ptr 0
		.amdhsa_user_sgpr_queue_ptr 0
		.amdhsa_user_sgpr_kernarg_segment_ptr 1
		.amdhsa_user_sgpr_dispatch_id 0
		.amdhsa_user_sgpr_kernarg_preload_length 0
		.amdhsa_user_sgpr_kernarg_preload_offset 0
		.amdhsa_user_sgpr_private_segment_size 0
		.amdhsa_wavefront_size32 1
		.amdhsa_uses_dynamic_stack 0
		.amdhsa_enable_private_segment 0
		.amdhsa_system_sgpr_workgroup_id_x 1
		.amdhsa_system_sgpr_workgroup_id_y 0
		.amdhsa_system_sgpr_workgroup_id_z 0
		.amdhsa_system_sgpr_workgroup_info 0
		.amdhsa_system_vgpr_workitem_id 0
		.amdhsa_next_free_vgpr 61
		.amdhsa_next_free_sgpr 32
		.amdhsa_named_barrier_count 0
		.amdhsa_reserve_vcc 1
		.amdhsa_float_round_mode_32 0
		.amdhsa_float_round_mode_16_64 0
		.amdhsa_float_denorm_mode_32 3
		.amdhsa_float_denorm_mode_16_64 3
		.amdhsa_fp16_overflow 0
		.amdhsa_memory_ordered 1
		.amdhsa_forward_progress 1
		.amdhsa_inst_pref_size 25
		.amdhsa_round_robin_scheduling 0
		.amdhsa_exception_fp_ieee_invalid_op 0
		.amdhsa_exception_fp_denorm_src 0
		.amdhsa_exception_fp_ieee_div_zero 0
		.amdhsa_exception_fp_ieee_overflow 0
		.amdhsa_exception_fp_ieee_underflow 0
		.amdhsa_exception_fp_ieee_inexact 0
		.amdhsa_exception_int_div_zero 0
	.end_amdhsa_kernel
	.section	.text._ZL16k_set_rows_quantIi10block_q4_0Li32ETnPFvPKfPT0_EXadL_ZL23quantize_f32_q4_0_blockS2_PS0_EEEvS2_PKT_S4_llllllllllllll15HIP_vector_typeIjLj3EESC_SC_SC_SC_,"axG",@progbits,_ZL16k_set_rows_quantIi10block_q4_0Li32ETnPFvPKfPT0_EXadL_ZL23quantize_f32_q4_0_blockS2_PS0_EEEvS2_PKT_S4_llllllllllllll15HIP_vector_typeIjLj3EESC_SC_SC_SC_,comdat
.Lfunc_end12:
	.size	_ZL16k_set_rows_quantIi10block_q4_0Li32ETnPFvPKfPT0_EXadL_ZL23quantize_f32_q4_0_blockS2_PS0_EEEvS2_PKT_S4_llllllllllllll15HIP_vector_typeIjLj3EESC_SC_SC_SC_, .Lfunc_end12-_ZL16k_set_rows_quantIi10block_q4_0Li32ETnPFvPKfPT0_EXadL_ZL23quantize_f32_q4_0_blockS2_PS0_EEEvS2_PKT_S4_llllllllllllll15HIP_vector_typeIjLj3EESC_SC_SC_SC_
                                        ; -- End function
	.set _ZL16k_set_rows_quantIi10block_q4_0Li32ETnPFvPKfPT0_EXadL_ZL23quantize_f32_q4_0_blockS2_PS0_EEEvS2_PKT_S4_llllllllllllll15HIP_vector_typeIjLj3EESC_SC_SC_SC_.num_vgpr, 61
	.set _ZL16k_set_rows_quantIi10block_q4_0Li32ETnPFvPKfPT0_EXadL_ZL23quantize_f32_q4_0_blockS2_PS0_EEEvS2_PKT_S4_llllllllllllll15HIP_vector_typeIjLj3EESC_SC_SC_SC_.num_agpr, 0
	.set _ZL16k_set_rows_quantIi10block_q4_0Li32ETnPFvPKfPT0_EXadL_ZL23quantize_f32_q4_0_blockS2_PS0_EEEvS2_PKT_S4_llllllllllllll15HIP_vector_typeIjLj3EESC_SC_SC_SC_.numbered_sgpr, 32
	.set _ZL16k_set_rows_quantIi10block_q4_0Li32ETnPFvPKfPT0_EXadL_ZL23quantize_f32_q4_0_blockS2_PS0_EEEvS2_PKT_S4_llllllllllllll15HIP_vector_typeIjLj3EESC_SC_SC_SC_.num_named_barrier, 0
	.set _ZL16k_set_rows_quantIi10block_q4_0Li32ETnPFvPKfPT0_EXadL_ZL23quantize_f32_q4_0_blockS2_PS0_EEEvS2_PKT_S4_llllllllllllll15HIP_vector_typeIjLj3EESC_SC_SC_SC_.private_seg_size, 0
	.set _ZL16k_set_rows_quantIi10block_q4_0Li32ETnPFvPKfPT0_EXadL_ZL23quantize_f32_q4_0_blockS2_PS0_EEEvS2_PKT_S4_llllllllllllll15HIP_vector_typeIjLj3EESC_SC_SC_SC_.uses_vcc, 1
	.set _ZL16k_set_rows_quantIi10block_q4_0Li32ETnPFvPKfPT0_EXadL_ZL23quantize_f32_q4_0_blockS2_PS0_EEEvS2_PKT_S4_llllllllllllll15HIP_vector_typeIjLj3EESC_SC_SC_SC_.uses_flat_scratch, 0
	.set _ZL16k_set_rows_quantIi10block_q4_0Li32ETnPFvPKfPT0_EXadL_ZL23quantize_f32_q4_0_blockS2_PS0_EEEvS2_PKT_S4_llllllllllllll15HIP_vector_typeIjLj3EESC_SC_SC_SC_.has_dyn_sized_stack, 0
	.set _ZL16k_set_rows_quantIi10block_q4_0Li32ETnPFvPKfPT0_EXadL_ZL23quantize_f32_q4_0_blockS2_PS0_EEEvS2_PKT_S4_llllllllllllll15HIP_vector_typeIjLj3EESC_SC_SC_SC_.has_recursion, 0
	.set _ZL16k_set_rows_quantIi10block_q4_0Li32ETnPFvPKfPT0_EXadL_ZL23quantize_f32_q4_0_blockS2_PS0_EEEvS2_PKT_S4_llllllllllllll15HIP_vector_typeIjLj3EESC_SC_SC_SC_.has_indirect_call, 0
	.section	.AMDGPU.csdata,"",@progbits
; Kernel info:
; codeLenInByte = 3088
; TotalNumSgprs: 34
; NumVgprs: 61
; ScratchSize: 0
; MemoryBound: 0
; FloatMode: 240
; IeeeMode: 1
; LDSByteSize: 0 bytes/workgroup (compile time only)
; SGPRBlocks: 0
; VGPRBlocks: 3
; NumSGPRsForWavesPerEU: 34
; NumVGPRsForWavesPerEU: 61
; NamedBarCnt: 0
; Occupancy: 16
; WaveLimiterHint : 1
; COMPUTE_PGM_RSRC2:SCRATCH_EN: 0
; COMPUTE_PGM_RSRC2:USER_SGPR: 2
; COMPUTE_PGM_RSRC2:TRAP_HANDLER: 0
; COMPUTE_PGM_RSRC2:TGID_X_EN: 1
; COMPUTE_PGM_RSRC2:TGID_Y_EN: 0
; COMPUTE_PGM_RSRC2:TGID_Z_EN: 0
; COMPUTE_PGM_RSRC2:TIDIG_COMP_CNT: 0
	.section	.text._ZL16k_set_rows_quantIi10block_q4_1Li32ETnPFvPKfPT0_EXadL_ZL23quantize_f32_q4_1_blockS2_PS0_EEEvS2_PKT_S4_llllllllllllll15HIP_vector_typeIjLj3EESC_SC_SC_SC_,"axG",@progbits,_ZL16k_set_rows_quantIi10block_q4_1Li32ETnPFvPKfPT0_EXadL_ZL23quantize_f32_q4_1_blockS2_PS0_EEEvS2_PKT_S4_llllllllllllll15HIP_vector_typeIjLj3EESC_SC_SC_SC_,comdat
	.globl	_ZL16k_set_rows_quantIi10block_q4_1Li32ETnPFvPKfPT0_EXadL_ZL23quantize_f32_q4_1_blockS2_PS0_EEEvS2_PKT_S4_llllllllllllll15HIP_vector_typeIjLj3EESC_SC_SC_SC_ ; -- Begin function _ZL16k_set_rows_quantIi10block_q4_1Li32ETnPFvPKfPT0_EXadL_ZL23quantize_f32_q4_1_blockS2_PS0_EEEvS2_PKT_S4_llllllllllllll15HIP_vector_typeIjLj3EESC_SC_SC_SC_
	.p2align	8
	.type	_ZL16k_set_rows_quantIi10block_q4_1Li32ETnPFvPKfPT0_EXadL_ZL23quantize_f32_q4_1_blockS2_PS0_EEEvS2_PKT_S4_llllllllllllll15HIP_vector_typeIjLj3EESC_SC_SC_SC_,@function
_ZL16k_set_rows_quantIi10block_q4_1Li32ETnPFvPKfPT0_EXadL_ZL23quantize_f32_q4_1_blockS2_PS0_EEEvS2_PKT_S4_llllllllllllll15HIP_vector_typeIjLj3EESC_SC_SC_SC_: ; @_ZL16k_set_rows_quantIi10block_q4_1Li32ETnPFvPKfPT0_EXadL_ZL23quantize_f32_q4_1_blockS2_PS0_EEEvS2_PKT_S4_llllllllllllll15HIP_vector_typeIjLj3EESC_SC_SC_SC_
; %bb.0:
	s_clause 0x1
	s_load_b32 s4, s[0:1], 0xd4
	s_load_b64 s[2:3], s[0:1], 0x18
	s_bfe_u32 s5, ttmp6, 0x4000c
	s_and_b32 s6, ttmp6, 15
	s_add_co_i32 s5, s5, 1
	s_getreg_b32 s7, hwreg(HW_REG_IB_STS2, 6, 4)
	s_mul_i32 s5, ttmp9, s5
	v_mov_b32_e32 v1, 0
	s_add_co_i32 s6, s6, s5
	s_wait_kmcnt 0x0
	s_and_b32 s4, s4, 0xffff
	s_cmp_eq_u32 s7, 0
	s_cselect_b32 s5, ttmp9, s6
	s_delay_alu instid0(SALU_CYCLE_1) | instskip(NEXT) | instid1(VALU_DEP_1)
	v_mad_nc_u64_u32 v[2:3], s4, s5, v[0:1]
	v_cmp_gt_i64_e32 vcc_lo, s[2:3], v[2:3]
	s_and_saveexec_b32 s2, vcc_lo
	s_cbranch_execz .LBB13_2
; %bb.1:
	s_load_b256 s[20:27], s[0:1], 0x88
	v_lshlrev_b32_e32 v0, 5, v2
	s_clause 0x1
	s_load_b128 s[28:31], s[0:1], 0xa8
	s_load_b512 s[4:19], s[0:1], 0x40
	v_dual_mov_b32 v3, v1 :: v_dual_mov_b32 v35, v1
	v_mov_b32_e32 v37, v1
	s_load_b64 s[2:3], s[0:1], 0x10
	s_wait_kmcnt 0x0
	v_mul_hi_u32 v2, s20, v0
	s_delay_alu instid0(VALU_DEP_1) | instskip(NEXT) | instid1(VALU_DEP_1)
	v_add_nc_u32_e32 v2, v0, v2
	v_lshrrev_b32_e32 v10, s21, v2
	s_delay_alu instid0(VALU_DEP_1) | instskip(NEXT) | instid1(VALU_DEP_1)
	v_mul_hi_u32 v2, v10, s23
	v_add_nc_u32_e32 v2, v10, v2
	s_delay_alu instid0(VALU_DEP_1) | instskip(NEXT) | instid1(VALU_DEP_1)
	v_lshrrev_b32_e32 v6, s24, v2
	v_mul_hi_u32 v2, v6, s26
	s_delay_alu instid0(VALU_DEP_1) | instskip(NEXT) | instid1(VALU_DEP_1)
	v_add_nc_u32_e32 v2, v6, v2
	v_lshrrev_b32_e32 v36, s27, v2
	v_mul_lo_u32 v4, v6, s25
	s_delay_alu instid0(VALU_DEP_2) | instskip(SKIP_1) | instid1(VALU_DEP_3)
	v_mul_lo_u32 v7, v36, s28
	v_mul_u64_e32 v[8:9], s[8:9], v[36:37]
	v_sub_nc_u32_e32 v2, v10, v4
	v_mul_lo_u32 v10, v10, s22
	s_load_b96 s[20:22], s[0:1], 0xb8
	s_delay_alu instid0(VALU_DEP_4) | instskip(NEXT) | instid1(VALU_DEP_3)
	v_sub_nc_u32_e32 v34, v6, v7
	v_mul_u64_e32 v[4:5], s[4:5], v[2:3]
	s_delay_alu instid0(VALU_DEP_2) | instskip(SKIP_1) | instid1(VALU_DEP_4)
	v_mul_u64_e32 v[6:7], s[6:7], v[34:35]
	s_load_b128 s[4:7], s[0:1], 0x0
	v_sub_nc_u32_e32 v0, v0, v10
	v_mul_u64_e32 v[10:11], s[10:11], v[2:3]
	s_wait_xcnt 0x0
	s_load_b64 s[0:1], s[0:1], 0x80
	s_wait_kmcnt 0x0
	s_delay_alu instid0(VALU_DEP_4) | instskip(NEXT) | instid1(VALU_DEP_1)
	v_lshl_add_u64 v[4:5], v[4:5], 2, s[4:5]
	v_lshl_add_u64 v[4:5], v[6:7], 2, v[4:5]
	s_delay_alu instid0(VALU_DEP_3) | instskip(NEXT) | instid1(VALU_DEP_2)
	v_lshl_add_u64 v[10:11], v[10:11], 2, s[6:7]
	v_lshl_add_u64 v[4:5], v[8:9], 2, v[4:5]
	s_delay_alu instid0(VALU_DEP_1)
	v_lshl_add_u64 v[38:39], v[0:1], 2, v[4:5]
	v_mul_hi_u32 v4, v34, s29
	v_mul_hi_u32 v5, v36, s20
	s_clause 0x3
	global_load_b128 v[22:25], v[38:39], off
	global_load_b128 v[14:17], v[38:39], off offset:16
	global_load_b128 v[6:9], v[38:39], off offset:32
	global_load_b128 v[30:33], v[38:39], off offset:64
	v_dual_add_nc_u32 v4, v34, v4 :: v_dual_add_nc_u32 v5, v36, v5
	s_delay_alu instid0(VALU_DEP_1) | instskip(NEXT) | instid1(VALU_DEP_1)
	v_lshrrev_b32_e32 v4, s30, v4
	v_mul_lo_u32 v4, v4, s31
	s_delay_alu instid0(VALU_DEP_1) | instskip(NEXT) | instid1(VALU_DEP_1)
	v_dual_lshrrev_b32 v5, s21, v5 :: v_dual_sub_nc_u32 v4, v34, v4
	v_mul_lo_u32 v12, v5, s22
	s_delay_alu instid0(VALU_DEP_1) | instskip(NEXT) | instid1(VALU_DEP_1)
	v_dual_mov_b32 v5, v1 :: v_dual_sub_nc_u32 v2, v36, v12
	v_mul_u64_e32 v[12:13], s[12:13], v[4:5]
	s_delay_alu instid0(VALU_DEP_2) | instskip(SKIP_2) | instid1(VALU_DEP_1)
	v_mul_u64_e32 v[18:19], s[14:15], v[2:3]
	global_load_b128 v[2:5], v[38:39], off offset:48
	v_lshl_add_u64 v[10:11], v[12:13], 2, v[10:11]
	v_lshl_add_u64 v[40:41], v[18:19], 2, v[10:11]
	global_load_b32 v42, v[40:41], off
	s_clause 0x2
	global_load_b128 v[26:29], v[38:39], off offset:80
	global_load_b128 v[18:21], v[38:39], off offset:96
	global_load_b128 v[10:13], v[38:39], off offset:112
	s_wait_loadcnt 0x8
	v_cmp_gt_f32_e32 vcc_lo, 0x7f7fffff, v22
	v_cndmask_b32_e32 v35, 0x7f7fffff, v22, vcc_lo
	v_cmp_lt_f32_e32 vcc_lo, 0xff7fffff, v22
	v_cndmask_b32_e32 v37, 0xff7fffff, v22, vcc_lo
	s_delay_alu instid0(VALU_DEP_3) | instskip(SKIP_1) | instid1(VALU_DEP_3)
	v_cmp_gt_f32_e32 vcc_lo, v35, v23
	v_cndmask_b32_e32 v35, v35, v23, vcc_lo
	v_cmp_gt_f32_e32 vcc_lo, v23, v37
	v_cndmask_b32_e32 v37, v37, v23, vcc_lo
	s_delay_alu instid0(VALU_DEP_3) | instskip(SKIP_1) | instid1(VALU_DEP_3)
	v_cmp_gt_f32_e32 vcc_lo, v35, v24
	v_cndmask_b32_e32 v35, v35, v24, vcc_lo
	v_cmp_gt_f32_e32 vcc_lo, v24, v37
	;; [unrolled: 5-line block ×3, first 2 shown]
	v_cndmask_b32_e32 v37, v37, v25, vcc_lo
	s_wait_loadcnt 0x7
	s_delay_alu instid0(VALU_DEP_3) | instskip(SKIP_1) | instid1(VALU_DEP_3)
	v_cmp_gt_f32_e32 vcc_lo, v35, v14
	v_cndmask_b32_e32 v35, v35, v14, vcc_lo
	v_cmp_gt_f32_e32 vcc_lo, v14, v37
	v_cndmask_b32_e32 v37, v37, v14, vcc_lo
	s_delay_alu instid0(VALU_DEP_3) | instskip(SKIP_1) | instid1(VALU_DEP_3)
	v_cmp_gt_f32_e32 vcc_lo, v35, v15
	v_cndmask_b32_e32 v35, v35, v15, vcc_lo
	v_cmp_gt_f32_e32 vcc_lo, v15, v37
	v_cndmask_b32_e32 v37, v37, v15, vcc_lo
	;; [unrolled: 5-line block ×4, first 2 shown]
	s_wait_loadcnt 0x6
	s_delay_alu instid0(VALU_DEP_3) | instskip(SKIP_1) | instid1(VALU_DEP_3)
	v_cmp_gt_f32_e32 vcc_lo, v35, v6
	v_cndmask_b32_e32 v35, v35, v6, vcc_lo
	v_cmp_gt_f32_e32 vcc_lo, v6, v37
	v_cndmask_b32_e32 v37, v37, v6, vcc_lo
	s_delay_alu instid0(VALU_DEP_3) | instskip(SKIP_1) | instid1(VALU_DEP_3)
	v_cmp_lt_f32_e32 vcc_lo, v7, v35
	v_cndmask_b32_e32 v35, v35, v7, vcc_lo
	v_cmp_gt_f32_e32 vcc_lo, v7, v37
	v_cndmask_b32_e32 v37, v37, v7, vcc_lo
	s_delay_alu instid0(VALU_DEP_3) | instskip(SKIP_1) | instid1(VALU_DEP_3)
	v_cmp_gt_f32_e32 vcc_lo, v35, v8
	v_cndmask_b32_e32 v35, v35, v8, vcc_lo
	v_cmp_gt_f32_e32 vcc_lo, v8, v37
	v_cndmask_b32_e32 v37, v37, v8, vcc_lo
	s_delay_alu instid0(VALU_DEP_3) | instskip(SKIP_1) | instid1(VALU_DEP_3)
	v_cmp_gt_f32_e32 vcc_lo, v35, v9
	v_cndmask_b32_e32 v35, v35, v9, vcc_lo
	v_cmp_gt_f32_e32 vcc_lo, v9, v37
	v_cndmask_b32_e32 v37, v37, v9, vcc_lo
	s_wait_loadcnt 0x4
	s_delay_alu instid0(VALU_DEP_3) | instskip(SKIP_1) | instid1(VALU_DEP_3)
	v_cmp_gt_f32_e32 vcc_lo, v35, v2
	v_cndmask_b32_e32 v35, v35, v2, vcc_lo
	v_cmp_gt_f32_e32 vcc_lo, v2, v37
	v_cndmask_b32_e32 v37, v37, v2, vcc_lo
	s_delay_alu instid0(VALU_DEP_3) | instskip(SKIP_1) | instid1(VALU_DEP_3)
	v_cmp_gt_f32_e32 vcc_lo, v35, v3
	v_cndmask_b32_e32 v35, v35, v3, vcc_lo
	v_cmp_gt_f32_e32 vcc_lo, v3, v37
	v_cndmask_b32_e32 v37, v37, v3, vcc_lo
	;; [unrolled: 5-line block ×5, first 2 shown]
	s_delay_alu instid0(VALU_DEP_3) | instskip(SKIP_2) | instid1(VALU_DEP_3)
	v_cmp_gt_f32_e32 vcc_lo, v35, v31
	s_wait_loadcnt 0x3
	v_dual_ashrrev_i32 v43, 31, v42 :: v_dual_cndmask_b32 v35, v35, v31, vcc_lo
	v_cmp_gt_f32_e32 vcc_lo, v31, v37
	s_wait_xcnt 0x0
	s_delay_alu instid0(VALU_DEP_2) | instskip(SKIP_3) | instid1(VALU_DEP_3)
	v_mul_u64_e32 v[38:39], s[16:17], v[42:43]
	v_cndmask_b32_e32 v37, v37, v31, vcc_lo
	v_cmp_gt_f32_e32 vcc_lo, v35, v32
	v_cndmask_b32_e32 v35, v35, v32, vcc_lo
	v_cmp_gt_f32_e32 vcc_lo, v32, v37
	v_cndmask_b32_e32 v37, v37, v32, vcc_lo
	s_delay_alu instid0(VALU_DEP_3) | instskip(SKIP_1) | instid1(VALU_DEP_3)
	v_cmp_gt_f32_e32 vcc_lo, v35, v33
	v_cndmask_b32_e32 v35, v35, v33, vcc_lo
	v_cmp_gt_f32_e32 vcc_lo, v33, v37
	v_cndmask_b32_e32 v37, v37, v33, vcc_lo
	s_wait_loadcnt 0x2
	s_delay_alu instid0(VALU_DEP_3) | instskip(SKIP_4) | instid1(VALU_DEP_3)
	v_cmp_lt_f32_e32 vcc_lo, v26, v35
	v_mad_nc_u64_u32 v[38:39], s0, v36, v[38:39]
	v_cndmask_b32_e32 v35, v35, v26, vcc_lo
	v_cmp_gt_f32_e32 vcc_lo, v26, v37
	v_cndmask_b32_e32 v37, v37, v26, vcc_lo
	v_cmp_gt_f32_e32 vcc_lo, v35, v27
	v_mad_u32 v39, s1, v36, v39
	s_mov_b64 s[0:1], 0xcccccccd
	v_cndmask_b32_e32 v35, v35, v27, vcc_lo
	v_cmp_gt_f32_e32 vcc_lo, v27, v37
	v_cndmask_b32_e32 v37, v37, v27, vcc_lo
	s_delay_alu instid0(VALU_DEP_3) | instskip(SKIP_1) | instid1(VALU_DEP_3)
	v_cmp_gt_f32_e32 vcc_lo, v35, v28
	v_cndmask_b32_e32 v35, v35, v28, vcc_lo
	v_cmp_gt_f32_e32 vcc_lo, v28, v37
	v_cndmask_b32_e32 v37, v37, v28, vcc_lo
	s_delay_alu instid0(VALU_DEP_3) | instskip(SKIP_1) | instid1(VALU_DEP_3)
	v_cmp_gt_f32_e32 vcc_lo, v35, v29
	v_cndmask_b32_e32 v35, v35, v29, vcc_lo
	v_cmp_gt_f32_e32 vcc_lo, v29, v37
	v_cndmask_b32_e32 v37, v37, v29, vcc_lo
	s_wait_loadcnt 0x1
	s_delay_alu instid0(VALU_DEP_3) | instskip(SKIP_1) | instid1(VALU_DEP_3)
	v_cmp_gt_f32_e32 vcc_lo, v35, v18
	v_cndmask_b32_e32 v35, v35, v18, vcc_lo
	v_cmp_gt_f32_e32 vcc_lo, v18, v37
	v_cndmask_b32_e32 v37, v37, v18, vcc_lo
	s_delay_alu instid0(VALU_DEP_3) | instskip(SKIP_1) | instid1(VALU_DEP_3)
	v_cmp_gt_f32_e32 vcc_lo, v35, v19
	v_cndmask_b32_e32 v35, v35, v19, vcc_lo
	v_cmp_gt_f32_e32 vcc_lo, v19, v37
	v_cndmask_b32_e32 v37, v37, v19, vcc_lo
	;; [unrolled: 5-line block ×4, first 2 shown]
	s_wait_loadcnt 0x0
	s_delay_alu instid0(VALU_DEP_3) | instskip(SKIP_4) | instid1(VALU_DEP_3)
	v_cmp_gt_f32_e32 vcc_lo, v35, v10
	v_mad_nc_u64_u32 v[36:37], s18, v34, v[38:39]
	v_cndmask_b32_e32 v35, v35, v10, vcc_lo
	v_cmp_gt_f32_e32 vcc_lo, v10, v40
	v_cndmask_b32_e32 v38, v40, v10, vcc_lo
	v_cmp_gt_f32_e32 vcc_lo, v35, v11
	v_mad_u32 v42, s19, v34, v37
	v_dual_mov_b32 v37, v1 :: v_dual_cndmask_b32 v35, v35, v11, vcc_lo
	s_delay_alu instid0(VALU_DEP_4) | instskip(SKIP_1) | instid1(VALU_DEP_3)
	v_cmp_gt_f32_e32 vcc_lo, v11, v38
	v_cndmask_b32_e32 v38, v38, v11, vcc_lo
	v_cmp_gt_f32_e32 vcc_lo, v35, v12
	v_cndmask_b32_e32 v39, v35, v12, vcc_lo
	s_delay_alu instid0(VALU_DEP_3) | instskip(SKIP_2) | instid1(VALU_DEP_4)
	v_cmp_gt_f32_e32 vcc_lo, v12, v38
	v_mul_u64_e32 v[34:35], s[0:1], v[36:37]
	v_cndmask_b32_e32 v38, v38, v12, vcc_lo
	v_cmp_gt_f32_e32 vcc_lo, v39, v13
	v_cndmask_b32_e32 v34, v39, v13, vcc_lo
	s_delay_alu instid0(VALU_DEP_3) | instskip(NEXT) | instid1(VALU_DEP_2)
	v_cmp_gt_f32_e32 vcc_lo, v13, v38
	v_dual_cndmask_b32 v37, v38, v13 :: v_dual_sub_f32 v32, v32, v34
	v_dual_sub_f32 v25, v25, v34 :: v_dual_sub_f32 v28, v28, v34
	v_sub_f32_e32 v17, v17, v34
	s_delay_alu instid0(VALU_DEP_3) | instskip(SKIP_2) | instid1(VALU_DEP_3)
	v_dual_sub_f32 v41, v37, v34 :: v_dual_sub_f32 v19, v19, v34
	v_sub_f32_e32 v8, v8, v34
	v_dual_sub_f32 v20, v20, v34 :: v_dual_sub_f32 v9, v9, v34
	v_div_scale_f32 v37, null, 0x41700000, 0x41700000, v41
	v_dual_sub_f32 v11, v11, v34 :: v_dual_sub_f32 v33, v33, v34
	v_sub_f32_e32 v14, v14, v34
	s_delay_alu instid0(VALU_DEP_3) | instskip(SKIP_4) | instid1(TRANS32_DEP_1)
	v_rcp_f32_e32 v43, v37
	v_sub_f32_e32 v26, v26, v34
	v_dual_sub_f32 v10, v10, v34 :: v_dual_sub_f32 v3, v3, v34
	v_dual_sub_f32 v31, v31, v34 :: v_dual_sub_f32 v24, v24, v34
	;; [unrolled: 1-line block ×3, first 2 shown]
	v_fma_f32 v38, -v37, v43, 1.0
	v_sub_f32_e32 v2, v2, v34
	v_dual_sub_f32 v22, v22, v34 :: v_dual_sub_f32 v23, v23, v34
	s_delay_alu instid0(VALU_DEP_3) | instskip(SKIP_2) | instid1(VALU_DEP_2)
	v_dual_sub_f32 v21, v21, v34 :: v_dual_fmac_f32 v43, v38, v43
	v_div_scale_f32 v40, vcc_lo, v41, 0x41700000, v41
	v_dual_mov_b32 v39, v1 :: v_dual_mov_b32 v38, v35
	v_mul_f32_e32 v35, v40, v43
	s_delay_alu instid0(VALU_DEP_2) | instskip(NEXT) | instid1(VALU_DEP_2)
	v_mad_nc_u64_u32 v[38:39], 0xcccccccd, v42, v[38:39]
	v_fma_f32 v44, -v37, v35, v40
	s_delay_alu instid0(VALU_DEP_1) | instskip(NEXT) | instid1(VALU_DEP_1)
	v_fmac_f32_e32 v35, v44, v43
	v_dual_fma_f32 v37, -v37, v35, v40 :: v_dual_mov_b32 v40, v39
	v_mov_b32_e32 v39, v1
	s_delay_alu instid0(VALU_DEP_2) | instskip(SKIP_1) | instid1(VALU_DEP_3)
	v_div_fmas_f32 v35, v37, v43, v35
	v_sub_f32_e32 v43, v7, v34
	v_mad_nc_u64_u32 v[36:37], 0xcccccccc, v36, v[38:39]
	v_dual_lshrrev_b32 v38, 5, v0 :: v_dual_sub_f32 v30, v30, v34
	s_delay_alu instid0(VALU_DEP_4) | instskip(SKIP_1) | instid1(VALU_DEP_2)
	v_div_fixup_f32 v35, v35, 0x41700000, v41
	v_mov_b32_e32 v41, v1
	v_div_scale_f32 v36, null, v35, v35, 1.0
	v_mov_b32_e32 v0, v37
	s_delay_alu instid0(VALU_DEP_2) | instskip(NEXT) | instid1(VALU_DEP_1)
	v_rcp_f32_e32 v39, v36
	v_add_nc_u64_e32 v[0:1], v[40:41], v[0:1]
	v_div_scale_f32 v40, vcc_lo, 1.0, v35, 1.0
	s_delay_alu instid0(TRANS32_DEP_1) | instskip(NEXT) | instid1(VALU_DEP_3)
	v_fma_f32 v37, -v36, v39, 1.0
	v_mad_nc_u64_u32 v[0:1], 0xcccccccc, v42, v[0:1]
	s_delay_alu instid0(VALU_DEP_2) | instskip(NEXT) | instid1(VALU_DEP_1)
	v_dual_sub_f32 v42, v6, v34 :: v_dual_fmac_f32 v39, v37, v39
	v_dual_sub_f32 v15, v15, v34 :: v_dual_mul_f32 v37, v40, v39
	v_sub_f32_e32 v29, v29, v34
	s_delay_alu instid0(VALU_DEP_4) | instskip(NEXT) | instid1(VALU_DEP_3)
	v_alignbit_b32 v0, v1, v0, 4
	v_dual_fma_f32 v41, -v36, v37, v40 :: v_dual_sub_f32 v18, v18, v34
	v_lshrrev_b32_e32 v1, 4, v1
	s_delay_alu instid0(VALU_DEP_3) | instskip(NEXT) | instid1(VALU_DEP_3)
	v_mad_nc_u64_u32 v[6:7], v0, 20, s[2:3]
	v_fmac_f32_e32 v37, v41, v39
	s_delay_alu instid0(VALU_DEP_1) | instskip(SKIP_2) | instid1(VALU_DEP_3)
	v_fma_f32 v0, -v36, v37, v40
	v_sub_f32_e32 v36, v4, v34
	v_dual_sub_f32 v4, v12, v34 :: v_dual_sub_f32 v40, v13, v34
	v_div_fmas_f32 v0, v0, v39, v37
	v_mad_u32 v7, v1, 20, v7
	v_cmp_neq_f32_e32 vcc_lo, 0, v35
	v_sub_f32_e32 v39, v5, v34
	s_delay_alu instid0(VALU_DEP_4) | instskip(NEXT) | instid1(VALU_DEP_1)
	v_div_fixup_f32 v0, v0, v35, 1.0
	v_cndmask_b32_e32 v37, 0, v0, vcc_lo
	v_mad_nc_u64_u32 v[0:1], v38, 20, v[6:7]
	s_delay_alu instid0(VALU_DEP_2)
	v_fma_f32 v5, v30, v37, 0.5
	v_fma_f32 v6, v32, v37, 0.5
	;; [unrolled: 1-line block ×9, first 2 shown]
	v_cvt_i32_f32_e32 v2, v5
	v_cvt_i32_f32_e32 v5, v6
	;; [unrolled: 1-line block ×4, first 2 shown]
	v_fma_f32 v32, v14, v37, 0.5
	v_fma_f32 v13, v18, v37, 0.5
	;; [unrolled: 1-line block ×5, first 2 shown]
	v_cvt_f64_i32_e32 v[2:3], v2
	v_cvt_f64_i32_e32 v[4:5], v5
	;; [unrolled: 1-line block ×3, first 2 shown]
	v_cvt_i32_f32_e32 v12, v8
	v_cvt_f64_i32_e32 v[8:9], v9
	v_fma_f32 v10, v10, v37, 0.5
	v_fma_f32 v26, v15, v37, 0.5
	;; [unrolled: 1-line block ×3, first 2 shown]
	v_cvt_i32_f32_e32 v11, v13
	v_fma_f32 v30, v31, v37, 0.5
	v_cvt_i32_f32_e32 v15, v10
	v_fma_f32 v31, v33, v37, 0.5
	v_fma_f32 v33, v16, v37, 0.5
	v_cvt_f64_i32_e32 v[10:11], v11
	v_cvt_i32_f32_e32 v16, v14
	v_cvt_f64_i32_e32 v[12:13], v12
	v_cvt_f64_i32_e32 v[14:15], v15
	v_fma_f32 v28, v17, v37, 0.5
	v_fma_f32 v29, v29, v37, 0.5
	v_cvt_i32_f32_e32 v52, v32
	v_cvt_i32_f32_e32 v53, v33
	v_cvt_i32_f32_e32 v56, v38
	v_cvt_i32_f32_e32 v54, v28
	v_cvt_i32_f32_e32 v55, v29
	v_cvt_i32_f32_e32 v57, v41
	v_cvt_i32_f32_e32 v58, v42
	v_cvt_f64_i32_e32 v[16:17], v16
	v_fma_f32 v22, v22, v37, 0.5
	v_fma_f32 v23, v23, v37, 0.5
	;; [unrolled: 1-line block ×5, first 2 shown]
	v_min_num_f64_e32 v[2:3], 0x402e0000, v[2:3]
	v_min_num_f64_e32 v[4:5], 0x402e0000, v[4:5]
	;; [unrolled: 1-line block ×3, first 2 shown]
	v_fma_f32 v19, v19, v37, 0.5
	v_min_num_f64_e32 v[8:9], 0x402e0000, v[8:9]
	v_fma_f32 v21, v21, v37, 0.5
	v_fma_f32 v36, v36, v37, 0.5
	v_cvt_i32_f32_e32 v22, v22
	v_cvt_i32_f32_e32 v23, v23
	;; [unrolled: 1-line block ×6, first 2 shown]
	v_min_num_f64_e32 v[10:11], 0x402e0000, v[10:11]
	v_cvt_i32_f32_e32 v45, v27
	v_min_num_f64_e32 v[12:13], 0x402e0000, v[12:13]
	v_min_num_f64_e32 v[14:15], 0x402e0000, v[14:15]
	v_cvt_i32_f32_e32 v46, v18
	v_cvt_i32_f32_e32 v47, v19
	;; [unrolled: 1-line block ×6, first 2 shown]
	v_cvt_f64_i32_e32 v[18:19], v22
	v_cvt_f64_i32_e32 v[20:21], v23
	;; [unrolled: 1-line block ×3, first 2 shown]
	v_min_num_f64_e32 v[16:17], 0x402e0000, v[16:17]
	v_cvt_f64_i32_e32 v[28:29], v31
	v_cvt_i32_f32_e32 v59, v36
	v_cvt_f64_i32_e32 v[48:49], v48
	v_cvt_f64_i32_e32 v[50:51], v50
	;; [unrolled: 1-line block ×3, first 2 shown]
	v_cvt_i32_f64_e32 v60, v[2:3]
	v_cvt_f64_i32_e32 v[2:3], v54
	v_cvt_i32_f64_e32 v54, v[4:5]
	v_cvt_f64_i32_e32 v[4:5], v55
	;; [unrolled: 2-line block ×4, first 2 shown]
	v_cvt_f64_i32_e32 v[32:33], v45
	v_cvt_f64_i32_e32 v[44:45], v46
	;; [unrolled: 1-line block ×3, first 2 shown]
	v_cvt_i32_f64_e32 v53, v[10:11]
	v_cvt_f64_i32_e32 v[10:11], v56
	v_cvt_i32_f64_e32 v56, v[12:13]
	v_cvt_f64_i32_e32 v[12:13], v57
	;; [unrolled: 2-line block ×3, first 2 shown]
	v_min_num_f64_e32 v[18:19], 0x402e0000, v[18:19]
	v_min_num_f64_e32 v[20:21], 0x402e0000, v[20:21]
	;; [unrolled: 1-line block ×3, first 2 shown]
	v_cvt_i32_f64_e32 v58, v[16:17]
	v_cvt_f64_i32_e32 v[16:17], v59
	v_min_num_f64_e32 v[28:29], 0x402e0000, v[28:29]
	v_min_num_f64_e32 v[48:49], 0x402e0000, v[48:49]
	;; [unrolled: 1-line block ×14, first 2 shown]
	v_cvt_i32_f64_e32 v18, v[18:19]
	v_min_num_f64_e32 v[16:17], 0x402e0000, v[16:17]
	v_cvt_i32_f64_e32 v30, v[30:31]
	v_cvt_i32_f64_e32 v2, v[2:3]
	;; [unrolled: 1-line block ×9, first 2 shown]
	v_lshlrev_b16 v22, 4, v57
	v_lshlrev_b16 v23, 4, v58
	v_cvt_i32_f64_e32 v8, v[10:11]
	v_cvt_i32_f64_e32 v9, v[12:13]
	v_lshlrev_b16 v13, 4, v54
	v_cvt_i32_f64_e32 v10, v[14:15]
	v_lshlrev_b16 v15, 4, v52
	v_lshlrev_b16 v14, 4, v55
	;; [unrolled: 1-line block ×3, first 2 shown]
	v_cvt_i32_f64_e32 v11, v[16:17]
	v_lshlrev_b16 v17, 4, v56
	v_lshlrev_b16 v16, 4, v53
	;; [unrolled: 1-line block ×7, first 2 shown]
	v_or_b32_e32 v7, v15, v7
	v_fma_f32 v39, v39, v37, 0.5
	v_fma_f32 v37, v40, v37, 0.5
	v_cvt_i32_f32_e32 v40, v25
	v_cvt_f64_i32_e32 v[24:25], v24
	v_lshlrev_b16 v21, 12, v21
	v_cvt_i32_f32_e32 v42, v39
	v_cvt_i32_f32_e32 v43, v37
	v_cvt_f64_i32_e32 v[26:27], v40
	v_cvt_f64_i32_e32 v[36:37], v38
	;; [unrolled: 1-line block ×5, first 2 shown]
	v_or_b32_e32 v2, v3, v2
	v_or_b32_e32 v3, v5, v4
	v_lshlrev_b16 v31, 12, v31
	v_or_b32_e32 v10, v22, v10
	s_delay_alu instid0(VALU_DEP_4) | instskip(SKIP_1) | instid1(VALU_DEP_2)
	v_bitop3_b16 v2, v7, v2, 0xff bitop3:0xec
	v_or_b32_e32 v9, v17, v9
	v_dual_lshlrev_b32 v2, 16, v2 :: v_dual_bitop2_b32 v11, v23, v11 bitop3:0x54
	v_min_num_f64_e32 v[24:25], 0x402e0000, v[24:25]
	v_min_num_f64_e32 v[26:27], 0x402e0000, v[26:27]
	;; [unrolled: 1-line block ×6, first 2 shown]
	v_cvt_i32_f64_e32 v19, v[24:25]
	v_cvt_i32_f64_e32 v20, v[26:27]
	;; [unrolled: 1-line block ×10, first 2 shown]
	v_or_b32_e32 v13, v13, v19
	v_lshlrev_b16 v20, 8, v20
	v_lshlrev_b16 v24, 8, v36
	;; [unrolled: 1-line block ×7, first 2 shown]
	v_or_b32_e32 v4, v21, v20
	v_lshlrev_b16 v28, 8, v40
	v_lshlrev_b16 v29, 12, v41
	v_or_b32_e32 v15, v27, v26
	v_or_b32_e32 v17, v33, v32
	v_bitop3_b16 v4, v13, v4, 0xff bitop3:0xec
	v_or_b32_e32 v6, v14, v6
	v_or_b32_e32 v14, v25, v24
	s_delay_alu instid0(VALU_DEP_4) | instskip(SKIP_2) | instid1(VALU_DEP_4)
	v_bitop3_b16 v9, v9, v17, 0xff bitop3:0xec
	v_or_b32_e32 v12, v12, v18
	v_or_b32_e32 v18, v31, v30
	v_bitop3_b16 v5, v10, v14, 0xff bitop3:0xec
	v_bitop3_b16 v10, v11, v15, 0xff bitop3:0xec
	v_or_b32_e32 v8, v16, v8
	v_dual_lshlrev_b32 v9, 16, v9 :: v_dual_bitop2_b32 v16, v29, v28 bitop3:0x54
	v_bitop3_b16 v3, v12, v3, 0xff bitop3:0xec
	s_delay_alu instid0(VALU_DEP_4) | instskip(NEXT) | instid1(VALU_DEP_3)
	v_dual_lshlrev_b32 v7, 16, v10 :: v_dual_lshlrev_b32 v11, 16, v4
	v_bitop3_b16 v8, v8, v16, 0xff bitop3:0xec
	v_bitop3_b16 v6, v6, v18, 0xff bitop3:0xec
	v_and_b32_e32 v5, 0xffff, v5
	v_and_b32_e32 v10, 0xffff, v3
	v_cvt_pk_f16_f32 v12, v35, v34
	v_and_b32_e32 v8, 0xffff, v8
	v_and_b32_e32 v6, 0xffff, v6
	v_or_b32_e32 v5, v5, v7
	s_delay_alu instid0(VALU_DEP_3) | instskip(NEXT) | instid1(VALU_DEP_3)
	v_or_b32_e32 v4, v8, v9
	v_or_b32_e32 v3, v6, v2
	;; [unrolled: 1-line block ×3, first 2 shown]
	s_clause 0x1
	global_store_b32 v[0:1], v12, off
	global_store_b128 v[0:1], v[2:5], off offset:4
.LBB13_2:
	s_endpgm
	.section	.rodata,"a",@progbits
	.p2align	6, 0x0
	.amdhsa_kernel _ZL16k_set_rows_quantIi10block_q4_1Li32ETnPFvPKfPT0_EXadL_ZL23quantize_f32_q4_1_blockS2_PS0_EEEvS2_PKT_S4_llllllllllllll15HIP_vector_typeIjLj3EESC_SC_SC_SC_
		.amdhsa_group_segment_fixed_size 0
		.amdhsa_private_segment_fixed_size 0
		.amdhsa_kernarg_size 456
		.amdhsa_user_sgpr_count 2
		.amdhsa_user_sgpr_dispatch_ptr 0
		.amdhsa_user_sgpr_queue_ptr 0
		.amdhsa_user_sgpr_kernarg_segment_ptr 1
		.amdhsa_user_sgpr_dispatch_id 0
		.amdhsa_user_sgpr_kernarg_preload_length 0
		.amdhsa_user_sgpr_kernarg_preload_offset 0
		.amdhsa_user_sgpr_private_segment_size 0
		.amdhsa_wavefront_size32 1
		.amdhsa_uses_dynamic_stack 0
		.amdhsa_enable_private_segment 0
		.amdhsa_system_sgpr_workgroup_id_x 1
		.amdhsa_system_sgpr_workgroup_id_y 0
		.amdhsa_system_sgpr_workgroup_id_z 0
		.amdhsa_system_sgpr_workgroup_info 0
		.amdhsa_system_vgpr_workitem_id 0
		.amdhsa_next_free_vgpr 61
		.amdhsa_next_free_sgpr 32
		.amdhsa_named_barrier_count 0
		.amdhsa_reserve_vcc 1
		.amdhsa_float_round_mode_32 0
		.amdhsa_float_round_mode_16_64 0
		.amdhsa_float_denorm_mode_32 3
		.amdhsa_float_denorm_mode_16_64 3
		.amdhsa_fp16_overflow 0
		.amdhsa_memory_ordered 1
		.amdhsa_forward_progress 1
		.amdhsa_inst_pref_size 26
		.amdhsa_round_robin_scheduling 0
		.amdhsa_exception_fp_ieee_invalid_op 0
		.amdhsa_exception_fp_denorm_src 0
		.amdhsa_exception_fp_ieee_div_zero 0
		.amdhsa_exception_fp_ieee_overflow 0
		.amdhsa_exception_fp_ieee_underflow 0
		.amdhsa_exception_fp_ieee_inexact 0
		.amdhsa_exception_int_div_zero 0
	.end_amdhsa_kernel
	.section	.text._ZL16k_set_rows_quantIi10block_q4_1Li32ETnPFvPKfPT0_EXadL_ZL23quantize_f32_q4_1_blockS2_PS0_EEEvS2_PKT_S4_llllllllllllll15HIP_vector_typeIjLj3EESC_SC_SC_SC_,"axG",@progbits,_ZL16k_set_rows_quantIi10block_q4_1Li32ETnPFvPKfPT0_EXadL_ZL23quantize_f32_q4_1_blockS2_PS0_EEEvS2_PKT_S4_llllllllllllll15HIP_vector_typeIjLj3EESC_SC_SC_SC_,comdat
.Lfunc_end13:
	.size	_ZL16k_set_rows_quantIi10block_q4_1Li32ETnPFvPKfPT0_EXadL_ZL23quantize_f32_q4_1_blockS2_PS0_EEEvS2_PKT_S4_llllllllllllll15HIP_vector_typeIjLj3EESC_SC_SC_SC_, .Lfunc_end13-_ZL16k_set_rows_quantIi10block_q4_1Li32ETnPFvPKfPT0_EXadL_ZL23quantize_f32_q4_1_blockS2_PS0_EEEvS2_PKT_S4_llllllllllllll15HIP_vector_typeIjLj3EESC_SC_SC_SC_
                                        ; -- End function
	.set _ZL16k_set_rows_quantIi10block_q4_1Li32ETnPFvPKfPT0_EXadL_ZL23quantize_f32_q4_1_blockS2_PS0_EEEvS2_PKT_S4_llllllllllllll15HIP_vector_typeIjLj3EESC_SC_SC_SC_.num_vgpr, 61
	.set _ZL16k_set_rows_quantIi10block_q4_1Li32ETnPFvPKfPT0_EXadL_ZL23quantize_f32_q4_1_blockS2_PS0_EEEvS2_PKT_S4_llllllllllllll15HIP_vector_typeIjLj3EESC_SC_SC_SC_.num_agpr, 0
	.set _ZL16k_set_rows_quantIi10block_q4_1Li32ETnPFvPKfPT0_EXadL_ZL23quantize_f32_q4_1_blockS2_PS0_EEEvS2_PKT_S4_llllllllllllll15HIP_vector_typeIjLj3EESC_SC_SC_SC_.numbered_sgpr, 32
	.set _ZL16k_set_rows_quantIi10block_q4_1Li32ETnPFvPKfPT0_EXadL_ZL23quantize_f32_q4_1_blockS2_PS0_EEEvS2_PKT_S4_llllllllllllll15HIP_vector_typeIjLj3EESC_SC_SC_SC_.num_named_barrier, 0
	.set _ZL16k_set_rows_quantIi10block_q4_1Li32ETnPFvPKfPT0_EXadL_ZL23quantize_f32_q4_1_blockS2_PS0_EEEvS2_PKT_S4_llllllllllllll15HIP_vector_typeIjLj3EESC_SC_SC_SC_.private_seg_size, 0
	.set _ZL16k_set_rows_quantIi10block_q4_1Li32ETnPFvPKfPT0_EXadL_ZL23quantize_f32_q4_1_blockS2_PS0_EEEvS2_PKT_S4_llllllllllllll15HIP_vector_typeIjLj3EESC_SC_SC_SC_.uses_vcc, 1
	.set _ZL16k_set_rows_quantIi10block_q4_1Li32ETnPFvPKfPT0_EXadL_ZL23quantize_f32_q4_1_blockS2_PS0_EEEvS2_PKT_S4_llllllllllllll15HIP_vector_typeIjLj3EESC_SC_SC_SC_.uses_flat_scratch, 0
	.set _ZL16k_set_rows_quantIi10block_q4_1Li32ETnPFvPKfPT0_EXadL_ZL23quantize_f32_q4_1_blockS2_PS0_EEEvS2_PKT_S4_llllllllllllll15HIP_vector_typeIjLj3EESC_SC_SC_SC_.has_dyn_sized_stack, 0
	.set _ZL16k_set_rows_quantIi10block_q4_1Li32ETnPFvPKfPT0_EXadL_ZL23quantize_f32_q4_1_blockS2_PS0_EEEvS2_PKT_S4_llllllllllllll15HIP_vector_typeIjLj3EESC_SC_SC_SC_.has_recursion, 0
	.set _ZL16k_set_rows_quantIi10block_q4_1Li32ETnPFvPKfPT0_EXadL_ZL23quantize_f32_q4_1_blockS2_PS0_EEEvS2_PKT_S4_llllllllllllll15HIP_vector_typeIjLj3EESC_SC_SC_SC_.has_indirect_call, 0
	.section	.AMDGPU.csdata,"",@progbits
; Kernel info:
; codeLenInByte = 3204
; TotalNumSgprs: 34
; NumVgprs: 61
; ScratchSize: 0
; MemoryBound: 0
; FloatMode: 240
; IeeeMode: 1
; LDSByteSize: 0 bytes/workgroup (compile time only)
; SGPRBlocks: 0
; VGPRBlocks: 3
; NumSGPRsForWavesPerEU: 34
; NumVGPRsForWavesPerEU: 61
; NamedBarCnt: 0
; Occupancy: 16
; WaveLimiterHint : 1
; COMPUTE_PGM_RSRC2:SCRATCH_EN: 0
; COMPUTE_PGM_RSRC2:USER_SGPR: 2
; COMPUTE_PGM_RSRC2:TRAP_HANDLER: 0
; COMPUTE_PGM_RSRC2:TGID_X_EN: 1
; COMPUTE_PGM_RSRC2:TGID_Y_EN: 0
; COMPUTE_PGM_RSRC2:TGID_Z_EN: 0
; COMPUTE_PGM_RSRC2:TIDIG_COMP_CNT: 0
	.section	.text._ZL16k_set_rows_quantIi10block_q5_0Li32ETnPFvPKfPT0_EXadL_ZL23quantize_f32_q5_0_blockS2_PS0_EEEvS2_PKT_S4_llllllllllllll15HIP_vector_typeIjLj3EESC_SC_SC_SC_,"axG",@progbits,_ZL16k_set_rows_quantIi10block_q5_0Li32ETnPFvPKfPT0_EXadL_ZL23quantize_f32_q5_0_blockS2_PS0_EEEvS2_PKT_S4_llllllllllllll15HIP_vector_typeIjLj3EESC_SC_SC_SC_,comdat
	.globl	_ZL16k_set_rows_quantIi10block_q5_0Li32ETnPFvPKfPT0_EXadL_ZL23quantize_f32_q5_0_blockS2_PS0_EEEvS2_PKT_S4_llllllllllllll15HIP_vector_typeIjLj3EESC_SC_SC_SC_ ; -- Begin function _ZL16k_set_rows_quantIi10block_q5_0Li32ETnPFvPKfPT0_EXadL_ZL23quantize_f32_q5_0_blockS2_PS0_EEEvS2_PKT_S4_llllllllllllll15HIP_vector_typeIjLj3EESC_SC_SC_SC_
	.p2align	8
	.type	_ZL16k_set_rows_quantIi10block_q5_0Li32ETnPFvPKfPT0_EXadL_ZL23quantize_f32_q5_0_blockS2_PS0_EEEvS2_PKT_S4_llllllllllllll15HIP_vector_typeIjLj3EESC_SC_SC_SC_,@function
_ZL16k_set_rows_quantIi10block_q5_0Li32ETnPFvPKfPT0_EXadL_ZL23quantize_f32_q5_0_blockS2_PS0_EEEvS2_PKT_S4_llllllllllllll15HIP_vector_typeIjLj3EESC_SC_SC_SC_: ; @_ZL16k_set_rows_quantIi10block_q5_0Li32ETnPFvPKfPT0_EXadL_ZL23quantize_f32_q5_0_blockS2_PS0_EEEvS2_PKT_S4_llllllllllllll15HIP_vector_typeIjLj3EESC_SC_SC_SC_
; %bb.0:
	s_clause 0x1
	s_load_b32 s4, s[0:1], 0xd4
	s_load_b64 s[2:3], s[0:1], 0x18
	s_bfe_u32 s5, ttmp6, 0x4000c
	s_and_b32 s6, ttmp6, 15
	s_add_co_i32 s5, s5, 1
	s_getreg_b32 s7, hwreg(HW_REG_IB_STS2, 6, 4)
	s_mul_i32 s5, ttmp9, s5
	v_mov_b32_e32 v1, 0
	s_add_co_i32 s6, s6, s5
	s_wait_kmcnt 0x0
	s_and_b32 s4, s4, 0xffff
	s_cmp_eq_u32 s7, 0
	s_cselect_b32 s5, ttmp9, s6
	s_delay_alu instid0(SALU_CYCLE_1) | instskip(NEXT) | instid1(VALU_DEP_1)
	v_mad_nc_u64_u32 v[2:3], s4, s5, v[0:1]
	v_cmp_gt_i64_e32 vcc_lo, s[2:3], v[2:3]
	s_mov_b32 s3, 0
	s_and_saveexec_b32 s2, vcc_lo
	s_cbranch_execz .LBB14_4
; %bb.1:
	s_load_b256 s[20:27], s[0:1], 0x88
	v_lshlrev_b32_e32 v0, 5, v2
	s_clause 0x1
	s_load_b128 s[28:31], s[0:1], 0xa8
	s_load_b512 s[4:19], s[0:1], 0x40
	v_dual_mov_b32 v33, v1 :: v_dual_mov_b32 v15, v1
	v_dual_mov_b32 v11, v1 :: v_dual_mov_b32 v35, v1
	s_wait_kmcnt 0x0
	v_mul_hi_u32 v2, s20, v0
	s_delay_alu instid0(VALU_DEP_1) | instskip(NEXT) | instid1(VALU_DEP_1)
	v_add_nc_u32_e32 v2, v0, v2
	v_lshrrev_b32_e32 v12, s21, v2
	s_delay_alu instid0(VALU_DEP_1) | instskip(NEXT) | instid1(VALU_DEP_1)
	v_mul_hi_u32 v2, v12, s23
	v_add_nc_u32_e32 v2, v12, v2
	s_delay_alu instid0(VALU_DEP_1) | instskip(NEXT) | instid1(VALU_DEP_1)
	v_lshrrev_b32_e32 v4, s24, v2
	v_mul_hi_u32 v2, v4, s26
	s_delay_alu instid0(VALU_DEP_1) | instskip(NEXT) | instid1(VALU_DEP_1)
	v_add_nc_u32_e32 v2, v4, v2
	v_lshrrev_b32_e32 v10, s27, v2
	v_mul_lo_u32 v3, v4, s25
	s_delay_alu instid0(VALU_DEP_2)
	v_mul_lo_u32 v5, v10, s28
	v_mul_u64_e32 v[8:9], s[8:9], v[10:11]
	v_mul_lo_u32 v11, v12, s22
	s_clause 0x1
	s_load_b64 s[8:9], s[0:1], 0x10
	s_load_b96 s[20:22], s[0:1], 0xb8
	s_delay_alu instid0(VALU_DEP_4) | instskip(NEXT) | instid1(VALU_DEP_4)
	v_sub_nc_u32_e32 v32, v12, v3
	v_sub_nc_u32_e32 v14, v4, v5
	s_delay_alu instid0(VALU_DEP_2) | instskip(NEXT) | instid1(VALU_DEP_4)
	v_mul_u64_e32 v[2:3], s[4:5], v[32:33]
	v_sub_nc_u32_e32 v0, v0, v11
	v_mul_u64_e32 v[36:37], s[10:11], v[32:33]
	s_delay_alu instid0(VALU_DEP_4)
	v_mul_u64_e32 v[6:7], s[6:7], v[14:15]
	s_load_b128 s[4:7], s[0:1], 0x0
	v_mul_hi_u32 v11, v14, s29
	s_wait_xcnt 0x0
	s_load_b64 s[0:1], s[0:1], 0x80
	s_wait_kmcnt 0x0
	v_mul_hi_u32 v15, v10, s20
	s_delay_alu instid0(VALU_DEP_2) | instskip(SKIP_3) | instid1(VALU_DEP_4)
	v_add_nc_u32_e32 v11, v14, v11
	v_lshlrev_b64_e32 v[12:13], 2, v[0:1]
	v_lshrrev_b32_e32 v0, 5, v0
	v_lshlrev_b64_e32 v[8:9], 2, v[8:9]
	v_lshrrev_b32_e32 v11, s30, v11
	v_add_nc_u32_e32 v15, v10, v15
	s_delay_alu instid0(VALU_DEP_2) | instskip(SKIP_3) | instid1(VALU_DEP_3)
	v_mul_lo_u32 v11, v11, s31
	v_lshlrev_b64_e32 v[4:5], 2, v[2:3]
	v_lshl_add_u64 v[36:37], v[36:37], 2, s[6:7]
	v_lshlrev_b64_e32 v[6:7], 2, v[6:7]
	v_add_nc_u64_e32 v[2:3], s[4:5], v[4:5]
	s_delay_alu instid0(VALU_DEP_1) | instskip(SKIP_1) | instid1(VALU_DEP_2)
	v_add_nc_u64_e32 v[2:3], v[2:3], v[6:7]
	v_add_nc_u64_e32 v[6:7], v[8:9], v[6:7]
	;; [unrolled: 1-line block ×3, first 2 shown]
	s_delay_alu instid0(VALU_DEP_2) | instskip(NEXT) | instid1(VALU_DEP_2)
	v_add_nc_u64_e32 v[4:5], v[6:7], v[4:5]
	v_add_nc_u64_e32 v[2:3], v[2:3], v[12:13]
	s_clause 0x2
	global_load_b128 v[16:19], v[2:3], off
	global_load_b128 v[20:23], v[2:3], off offset:16
	global_load_b128 v[24:27], v[2:3], off offset:32
	v_sub_nc_u32_e32 v34, v14, v11
	global_load_b128 v[28:31], v[2:3], off offset:48
	v_add_nc_u64_e32 v[4:5], v[4:5], v[12:13]
	s_delay_alu instid0(VALU_DEP_1) | instskip(SKIP_3) | instid1(VALU_DEP_1)
	v_add_nc_u64_e32 v[4:5], s[4:5], v[4:5]
	s_wait_loadcnt 0x3
	v_cmp_lg_f32_e32 vcc_lo, 0, v16
	v_dual_lshrrev_b32 v15, s21, v15 :: v_dual_cndmask_b32 v11, 0, v16, vcc_lo
	v_mul_lo_u32 v15, v15, s22
	s_delay_alu instid0(VALU_DEP_1) | instskip(SKIP_1) | instid1(VALU_DEP_1)
	v_sub_nc_u32_e32 v32, v10, v15
	v_cndmask_b32_e64 v15, 0, |v16|, vcc_lo
	v_cmp_lt_f32_e64 vcc_lo, v15, |v17|
	s_delay_alu instid0(VALU_DEP_1) | instskip(SKIP_2) | instid1(VALU_DEP_3)
	v_cndmask_b32_e64 v15, v15, |v17|, vcc_lo
	v_cndmask_b32_e32 v11, v11, v17, vcc_lo
	v_mul_u64_e32 v[38:39], s[12:13], v[34:35]
	v_cmp_lt_f32_e64 vcc_lo, v15, |v18|
	s_delay_alu instid0(VALU_DEP_3) | instskip(SKIP_3) | instid1(VALU_DEP_1)
	v_cndmask_b32_e32 v11, v11, v18, vcc_lo
	v_mul_u64_e32 v[40:41], s[14:15], v[32:33]
	global_load_b128 v[32:35], v[2:3], off offset:64
	v_cndmask_b32_e64 v15, v15, |v18|, vcc_lo
	v_cmp_lt_f32_e64 vcc_lo, v15, |v19|
	s_delay_alu instid0(VALU_DEP_1) | instskip(SKIP_1) | instid1(VALU_DEP_1)
	v_cndmask_b32_e64 v15, v15, |v19|, vcc_lo
	v_lshl_add_u64 v[36:37], v[38:39], 2, v[36:37]
	v_lshl_add_u64 v[48:49], v[40:41], 2, v[36:37]
	global_load_b32 v50, v[48:49], off
	s_clause 0x2
	global_load_b128 v[36:39], v[2:3], off offset:80
	global_load_b128 v[40:43], v[2:3], off offset:96
	;; [unrolled: 1-line block ×3, first 2 shown]
	v_cndmask_b32_e32 v11, v11, v19, vcc_lo
	s_wait_loadcnt 0x7
	v_cmp_lt_f32_e64 vcc_lo, v15, |v20|
	s_delay_alu instid0(VALU_DEP_1) | instskip(NEXT) | instid1(VALU_DEP_3)
	v_cndmask_b32_e64 v15, v15, |v20|, vcc_lo
	v_cndmask_b32_e32 v11, v11, v20, vcc_lo
	s_delay_alu instid0(VALU_DEP_2) | instskip(NEXT) | instid1(VALU_DEP_1)
	v_cmp_lt_f32_e64 vcc_lo, v15, |v21|
	v_cndmask_b32_e64 v15, v15, |v21|, vcc_lo
	s_delay_alu instid0(VALU_DEP_3) | instskip(NEXT) | instid1(VALU_DEP_2)
	v_cndmask_b32_e32 v11, v11, v21, vcc_lo
	v_cmp_lt_f32_e64 vcc_lo, v15, |v22|
	s_delay_alu instid0(VALU_DEP_1) | instskip(NEXT) | instid1(VALU_DEP_3)
	v_cndmask_b32_e64 v15, v15, |v22|, vcc_lo
	v_cndmask_b32_e32 v11, v11, v22, vcc_lo
	s_delay_alu instid0(VALU_DEP_2) | instskip(NEXT) | instid1(VALU_DEP_1)
	v_cmp_lt_f32_e64 vcc_lo, v15, |v23|
	v_cndmask_b32_e64 v15, v15, |v23|, vcc_lo
	s_delay_alu instid0(VALU_DEP_3) | instskip(SKIP_1) | instid1(VALU_DEP_2)
	v_cndmask_b32_e32 v11, v11, v23, vcc_lo
	s_wait_loadcnt 0x6
	v_cmp_lt_f32_e64 vcc_lo, v15, |v24|
	s_delay_alu instid0(VALU_DEP_1) | instskip(NEXT) | instid1(VALU_DEP_3)
	v_cndmask_b32_e64 v15, v15, |v24|, vcc_lo
	v_cndmask_b32_e32 v11, v11, v24, vcc_lo
	s_delay_alu instid0(VALU_DEP_2) | instskip(NEXT) | instid1(VALU_DEP_1)
	v_cmp_lt_f32_e64 vcc_lo, v15, |v25|
	v_cndmask_b32_e64 v15, v15, |v25|, vcc_lo
	s_delay_alu instid0(VALU_DEP_3) | instskip(NEXT) | instid1(VALU_DEP_2)
	v_cndmask_b32_e32 v11, v11, v25, vcc_lo
	v_cmp_lt_f32_e64 vcc_lo, v15, |v26|
	s_delay_alu instid0(VALU_DEP_1) | instskip(NEXT) | instid1(VALU_DEP_3)
	v_cndmask_b32_e64 v15, v15, |v26|, vcc_lo
	v_cndmask_b32_e32 v11, v11, v26, vcc_lo
	s_delay_alu instid0(VALU_DEP_2) | instskip(NEXT) | instid1(VALU_DEP_1)
	v_cmp_lt_f32_e64 vcc_lo, v15, |v27|
	v_cndmask_b32_e64 v15, v15, |v27|, vcc_lo
	s_delay_alu instid0(VALU_DEP_3) | instskip(SKIP_1) | instid1(VALU_DEP_2)
	;; [unrolled: 19-line block ×3, first 2 shown]
	v_cndmask_b32_e32 v11, v11, v31, vcc_lo
	s_wait_loadcnt 0x4
	v_cmp_lt_f32_e64 vcc_lo, v15, |v32|
	s_delay_alu instid0(VALU_DEP_1) | instskip(NEXT) | instid1(VALU_DEP_3)
	v_cndmask_b32_e64 v15, v15, |v32|, vcc_lo
	v_cndmask_b32_e32 v11, v11, v32, vcc_lo
	s_delay_alu instid0(VALU_DEP_2) | instskip(NEXT) | instid1(VALU_DEP_1)
	v_cmp_lt_f32_e64 vcc_lo, v15, |v33|
	v_cndmask_b32_e64 v15, v15, |v33|, vcc_lo
	s_delay_alu instid0(VALU_DEP_3) | instskip(NEXT) | instid1(VALU_DEP_2)
	v_cndmask_b32_e32 v11, v11, v33, vcc_lo
	v_cmp_lt_f32_e64 vcc_lo, v15, |v34|
	s_delay_alu instid0(VALU_DEP_1) | instskip(NEXT) | instid1(VALU_DEP_3)
	v_cndmask_b32_e64 v15, v15, |v34|, vcc_lo
	v_cndmask_b32_e32 v11, v11, v34, vcc_lo
	s_delay_alu instid0(VALU_DEP_2) | instskip(SKIP_2) | instid1(VALU_DEP_2)
	v_cmp_lt_f32_e64 vcc_lo, v15, |v35|
	s_wait_loadcnt 0x3
	v_ashrrev_i32_e32 v51, 31, v50
	v_cndmask_b32_e64 v15, v15, |v35|, vcc_lo
	v_cndmask_b32_e32 v11, v11, v35, vcc_lo
	s_delay_alu instid0(VALU_DEP_3) | instskip(SKIP_1) | instid1(VALU_DEP_3)
	v_mul_u64_e32 v[16:17], s[16:17], v[50:51]
	s_wait_loadcnt 0x2
	v_cmp_lt_f32_e64 vcc_lo, v15, |v36|
	s_delay_alu instid0(VALU_DEP_1) | instskip(SKIP_1) | instid1(VALU_DEP_2)
	v_cndmask_b32_e64 v15, v15, |v36|, vcc_lo
	v_cndmask_b32_e32 v11, v11, v36, vcc_lo
	v_cmp_lt_f32_e64 vcc_lo, v15, |v37|
	s_delay_alu instid0(VALU_DEP_1) | instskip(NEXT) | instid1(VALU_DEP_3)
	v_cndmask_b32_e64 v15, v15, |v37|, vcc_lo
	v_cndmask_b32_e32 v11, v11, v37, vcc_lo
	s_delay_alu instid0(VALU_DEP_2) | instskip(NEXT) | instid1(VALU_DEP_1)
	v_cmp_lt_f32_e64 vcc_lo, v15, |v38|
	v_cndmask_b32_e64 v15, v15, |v38|, vcc_lo
	s_delay_alu instid0(VALU_DEP_3) | instskip(SKIP_1) | instid1(VALU_DEP_3)
	v_cndmask_b32_e32 v11, v11, v38, vcc_lo
	v_mad_nc_u64_u32 v[16:17], s0, v10, v[16:17]
	v_cmp_lt_f32_e64 vcc_lo, v15, |v39|
	s_delay_alu instid0(VALU_DEP_1) | instskip(NEXT) | instid1(VALU_DEP_4)
	v_cndmask_b32_e64 v15, v15, |v39|, vcc_lo
	v_cndmask_b32_e32 v18, v11, v39, vcc_lo
	s_delay_alu instid0(VALU_DEP_4) | instskip(SKIP_1) | instid1(VALU_DEP_3)
	v_mad_u32 v17, s1, v10, v17
	s_wait_loadcnt 0x1
	v_cmp_lt_f32_e64 vcc_lo, v15, |v40|
	s_mov_b64 s[0:1], 0xba2e8ba3
	v_cndmask_b32_e64 v15, v15, |v40|, vcc_lo
	v_mad_nc_u64_u32 v[10:11], s18, v14, v[16:17]
	s_delay_alu instid0(VALU_DEP_1) | instskip(SKIP_1) | instid1(VALU_DEP_4)
	v_mad_u32 v20, s19, v14, v11
	v_dual_mov_b32 v11, v1 :: v_dual_cndmask_b32 v16, v18, v40
	v_cmp_lt_f32_e64 vcc_lo, v15, |v41|
	s_delay_alu instid0(VALU_DEP_1) | instskip(NEXT) | instid1(VALU_DEP_3)
	v_cndmask_b32_e64 v17, v15, |v41|, vcc_lo
	v_mul_u64_e32 v[14:15], s[0:1], v[10:11]
	s_delay_alu instid0(VALU_DEP_4) | instskip(SKIP_1) | instid1(VALU_DEP_3)
	v_cndmask_b32_e32 v16, v16, v41, vcc_lo
	s_mov_b32 s0, 0xbd800000
	v_cmp_lt_f32_e64 vcc_lo, v17, |v42|
	s_delay_alu instid0(VALU_DEP_1) | instskip(NEXT) | instid1(VALU_DEP_3)
	v_cndmask_b32_e64 v14, v17, |v42|, vcc_lo
	v_dual_cndmask_b32 v11, v16, v42, vcc_lo :: v_dual_mov_b32 v17, v1
	s_delay_alu instid0(VALU_DEP_2) | instskip(NEXT) | instid1(VALU_DEP_1)
	v_cmp_lt_f32_e64 vcc_lo, v14, |v43|
	v_cndmask_b32_e64 v14, v14, |v43|, vcc_lo
	v_mov_b32_e32 v16, v15
	s_delay_alu instid0(VALU_DEP_4) | instskip(SKIP_1) | instid1(VALU_DEP_3)
	v_cndmask_b32_e32 v11, v11, v43, vcc_lo
	s_wait_loadcnt 0x0
	v_cmp_lt_f32_e64 vcc_lo, v14, |v44|
	s_delay_alu instid0(VALU_DEP_1) | instskip(NEXT) | instid1(VALU_DEP_3)
	v_cndmask_b32_e64 v14, v14, |v44|, vcc_lo
	v_cndmask_b32_e32 v11, v11, v44, vcc_lo
	s_delay_alu instid0(VALU_DEP_2) | instskip(NEXT) | instid1(VALU_DEP_1)
	v_cmp_lt_f32_e64 vcc_lo, v14, |v45|
	v_cndmask_b32_e64 v18, v14, |v45|, vcc_lo
	v_mad_nc_u64_u32 v[14:15], 0xba2e8ba3, v20, v[16:17]
	s_delay_alu instid0(VALU_DEP_4) | instskip(NEXT) | instid1(VALU_DEP_3)
	v_cndmask_b32_e32 v11, v11, v45, vcc_lo
	v_cmp_lt_f32_e64 vcc_lo, v18, |v46|
	s_delay_alu instid0(VALU_DEP_1) | instskip(NEXT) | instid1(VALU_DEP_3)
	v_cndmask_b32_e64 v17, v18, |v46|, vcc_lo
	v_cndmask_b32_e32 v11, v11, v46, vcc_lo
	v_dual_mov_b32 v16, v15 :: v_dual_mov_b32 v15, v1
	v_mul_u64_e32 v[18:19], 22, v[0:1]
	s_delay_alu instid0(VALU_DEP_4) | instskip(NEXT) | instid1(VALU_DEP_1)
	v_cmp_lt_f32_e64 vcc_lo, v17, |v47|
	v_dual_mov_b32 v17, v1 :: v_dual_cndmask_b32 v21, v11, v47, vcc_lo
	s_delay_alu instid0(VALU_DEP_4) | instskip(NEXT) | instid1(VALU_DEP_2)
	v_mad_nc_u64_u32 v[10:11], 0x2e8ba2e8, v10, v[14:15]
	v_mul_f32_e32 v22, 0xbd800000, v21
	s_delay_alu instid0(VALU_DEP_1) | instskip(NEXT) | instid1(VALU_DEP_3)
	v_div_scale_f32 v23, null, v22, v22, 1.0
	v_mov_b32_e32 v14, v11
	s_delay_alu instid0(VALU_DEP_2) | instskip(NEXT) | instid1(VALU_DEP_1)
	v_rcp_f32_e32 v0, v23
	v_add_nc_u64_e32 v[10:11], v[16:17], v[14:15]
	s_delay_alu instid0(TRANS32_DEP_1) | instskip(NEXT) | instid1(VALU_DEP_2)
	v_fma_f32 v14, -v23, v0, 1.0
	v_mad_nc_u64_u32 v[8:9], 0x2e8ba2e8, v20, v[10:11]
	v_div_scale_f32 v10, vcc_lo, 1.0, v22, 1.0
	s_delay_alu instid0(VALU_DEP_3) | instskip(NEXT) | instid1(VALU_DEP_1)
	v_fmac_f32_e32 v0, v14, v0
	v_mul_f32_e32 v11, v10, v0
	s_delay_alu instid0(VALU_DEP_4) | instskip(NEXT) | instid1(VALU_DEP_2)
	v_alignbit_b32 v6, v9, v8, 2
	v_dual_lshrrev_b32 v7, 2, v9 :: v_dual_fma_f32 v14, -v23, v11, v10
	s_delay_alu instid0(VALU_DEP_2) | instskip(NEXT) | instid1(VALU_DEP_2)
	v_mad_nc_u64_u32 v[8:9], v6, 22, s[8:9]
	v_mul_lo_u32 v7, v7, 22
	s_delay_alu instid0(VALU_DEP_3) | instskip(SKIP_1) | instid1(VALU_DEP_3)
	v_fmac_f32_e32 v11, v14, v0
	v_mad_nc_u64_u32 v[12:13], v6, 22, v[18:19]
	v_add_nc_u32_e32 v9, v7, v9
	s_delay_alu instid0(VALU_DEP_3) | instskip(NEXT) | instid1(VALU_DEP_3)
	v_fma_f32 v6, -v23, v11, v10
	v_dual_mov_b32 v10, 0 :: v_dual_add_nc_u32 v13, v7, v13
	s_delay_alu instid0(VALU_DEP_2)
	v_div_fmas_f32 v0, v6, v0, v11
	v_cmp_neq_f32_e32 vcc_lo, 0, v22
	v_mov_b32_e32 v11, 0
	v_add_nc_u64_e32 v[6:7], 64, v[4:5]
	v_add_nc_u64_e32 v[4:5], v[8:9], v[18:19]
	v_div_fixup_f32 v0, v0, v22, 1.0
	v_add_nc_u64_e32 v[8:9], s[8:9], v[12:13]
	v_fma_mixlo_f16 v12, v21, s0, 0
	s_mov_b64 s[0:1], 0
	s_delay_alu instid0(VALU_DEP_3)
	v_cndmask_b32_e32 v0, 0, v0, vcc_lo
	global_store_b16 v[4:5], v12, off
.LBB14_2:                               ; =>This Inner Loop Header: Depth=1
	s_clause 0x1
	global_load_b64 v[12:13], v[6:7], off offset:-64
	global_load_b32 v16, v[6:7], off
	s_or_b32 s2, s0, 17
	v_and_b32_e32 v11, 0xff0000, v11
	v_lshl_add_u64 v[14:15], s[2:3], 2, v[2:3]
	v_and_b32_e32 v1, 0xffff, v1
	s_add_co_i32 s4, s0, 16
	s_add_co_i32 s5, s0, 1
	s_wait_xcnt 0x0
	v_add_nc_u64_e32 v[6:7], 8, v[6:7]
	global_load_b32 v14, v[14:15], off
	v_or3_b32 v1, v11, v10, v1
	s_wait_loadcnt 0x2
	v_dual_fmaak_f32 v12, v0, v12, 0x41840000 :: v_dual_fmaak_f32 v13, v0, v13, 0x41840000
	s_wait_loadcnt 0x1
	s_wait_xcnt 0x0
	v_fmaak_f32 v15, v0, v16, 0x41840000
	s_delay_alu instid0(VALU_DEP_2) | instskip(SKIP_3) | instid1(VALU_DEP_3)
	v_cvt_i32_f32_e32 v12, v12
	v_cvt_i32_f32_e32 v16, v13
	s_wait_loadcnt 0x0
	v_fmaak_f32 v17, v0, v14, 0x41840000
	v_cvt_f64_i32_e32 v[12:13], v12
	s_delay_alu instid0(VALU_DEP_2) | instskip(SKIP_1) | instid1(VALU_DEP_2)
	v_cvt_i32_f32_e32 v18, v17
	v_cvt_f64_i32_e32 v[16:17], v16
	v_cvt_f64_i32_e32 v[18:19], v18
	s_delay_alu instid0(VALU_DEP_4) | instskip(NEXT) | instid1(VALU_DEP_3)
	v_min_num_f64_e32 v[12:13], 0x403f0000, v[12:13]
	v_min_num_f64_e32 v[16:17], 0x403f0000, v[16:17]
	s_delay_alu instid0(VALU_DEP_3) | instskip(NEXT) | instid1(VALU_DEP_3)
	v_min_num_f64_e32 v[18:19], 0x403f0000, v[18:19]
	v_cvt_i32_f64_e32 v20, v[12:13]
	v_add_nc_u64_e32 v[12:13], s[0:1], v[8:9]
	s_delay_alu instid0(VALU_DEP_2) | instskip(NEXT) | instid1(VALU_DEP_1)
	v_lshrrev_b16 v10, 4, v20
	v_and_b32_e32 v10, 1, v10
	s_delay_alu instid0(VALU_DEP_1) | instskip(NEXT) | instid1(VALU_DEP_1)
	v_and_b32_e32 v10, 0xffff, v10
	v_lshlrev_b32_e32 v10, s0, v10
	v_cvt_i32_f32_e32 v15, v15
	s_add_nc_u64 s[0:1], s[0:1], 2
	s_delay_alu instid0(SALU_CYCLE_1) | instskip(NEXT) | instid1(VALU_DEP_1)
	s_cmp_lg_u32 s0, 16
	v_cvt_f64_i32_e32 v[14:15], v15
	s_delay_alu instid0(VALU_DEP_1) | instskip(NEXT) | instid1(VALU_DEP_1)
	v_min_num_f64_e32 v[14:15], 0x403f0000, v[14:15]
	v_cvt_i32_f64_e32 v14, v[14:15]
	v_cvt_i32_f64_e32 v15, v[16:17]
	;; [unrolled: 1-line block ×3, first 2 shown]
	s_delay_alu instid0(VALU_DEP_3) | instskip(SKIP_1) | instid1(VALU_DEP_3)
	v_lshrrev_b16 v11, 4, v14
	v_lshlrev_b16 v14, 4, v14
	v_lshrrev_b16 v18, 4, v16
	v_lshlrev_b16 v16, 12, v16
	s_delay_alu instid0(VALU_DEP_4) | instskip(NEXT) | instid1(VALU_DEP_3)
	v_and_b32_e32 v11, 1, v11
	v_and_b32_e32 v18, 1, v18
	s_delay_alu instid0(VALU_DEP_2) | instskip(NEXT) | instid1(VALU_DEP_2)
	v_and_b32_e32 v11, 0xffff, v11
	v_and_b32_e32 v18, 0xffff, v18
	;; [unrolled: 1-line block ×3, first 2 shown]
	v_lshrrev_b16 v15, 4, v15
	s_delay_alu instid0(VALU_DEP_4) | instskip(NEXT) | instid1(VALU_DEP_2)
	v_lshlrev_b32_e32 v11, s4, v11
	v_and_b32_e32 v15, 1, v15
	s_delay_alu instid0(VALU_DEP_2) | instskip(SKIP_4) | instid1(VALU_DEP_2)
	v_or3_b32 v1, v10, v1, v11
	v_bitop3_b16 v10, v14, v20, 15 bitop3:0xf8
	v_lshlrev_b32_e32 v14, s2, v18
	v_lshlrev_b16 v17, 8, v17
	v_and_b32_e32 v15, 0xffff, v15
	v_or_b32_e32 v11, v16, v17
	s_delay_alu instid0(VALU_DEP_2) | instskip(NEXT) | instid1(VALU_DEP_2)
	v_lshl_or_b32 v1, v15, s5, v1
	v_bitop3_b16 v15, v10, v11, 0xff bitop3:0xec
	s_delay_alu instid0(VALU_DEP_2)
	v_or_b32_e32 v11, v1, v14
	v_bitop3_b32 v10, v1, 0xff000000, v14 bitop3:0xc8
	global_store_b16 v[12:13], v15, off offset:6
	s_cbranch_scc1 .LBB14_2
; %bb.3:
	v_bfi_b32 v0, 0xffff, v1, v11
	global_store_b32 v[4:5], v0, off offset:2
.LBB14_4:
	s_endpgm
	.section	.rodata,"a",@progbits
	.p2align	6, 0x0
	.amdhsa_kernel _ZL16k_set_rows_quantIi10block_q5_0Li32ETnPFvPKfPT0_EXadL_ZL23quantize_f32_q5_0_blockS2_PS0_EEEvS2_PKT_S4_llllllllllllll15HIP_vector_typeIjLj3EESC_SC_SC_SC_
		.amdhsa_group_segment_fixed_size 0
		.amdhsa_private_segment_fixed_size 0
		.amdhsa_kernarg_size 456
		.amdhsa_user_sgpr_count 2
		.amdhsa_user_sgpr_dispatch_ptr 0
		.amdhsa_user_sgpr_queue_ptr 0
		.amdhsa_user_sgpr_kernarg_segment_ptr 1
		.amdhsa_user_sgpr_dispatch_id 0
		.amdhsa_user_sgpr_kernarg_preload_length 0
		.amdhsa_user_sgpr_kernarg_preload_offset 0
		.amdhsa_user_sgpr_private_segment_size 0
		.amdhsa_wavefront_size32 1
		.amdhsa_uses_dynamic_stack 0
		.amdhsa_enable_private_segment 0
		.amdhsa_system_sgpr_workgroup_id_x 1
		.amdhsa_system_sgpr_workgroup_id_y 0
		.amdhsa_system_sgpr_workgroup_id_z 0
		.amdhsa_system_sgpr_workgroup_info 0
		.amdhsa_system_vgpr_workitem_id 0
		.amdhsa_next_free_vgpr 52
		.amdhsa_next_free_sgpr 32
		.amdhsa_named_barrier_count 0
		.amdhsa_reserve_vcc 1
		.amdhsa_float_round_mode_32 0
		.amdhsa_float_round_mode_16_64 0
		.amdhsa_float_denorm_mode_32 3
		.amdhsa_float_denorm_mode_16_64 3
		.amdhsa_fp16_overflow 0
		.amdhsa_memory_ordered 1
		.amdhsa_forward_progress 1
		.amdhsa_inst_pref_size 19
		.amdhsa_round_robin_scheduling 0
		.amdhsa_exception_fp_ieee_invalid_op 0
		.amdhsa_exception_fp_denorm_src 0
		.amdhsa_exception_fp_ieee_div_zero 0
		.amdhsa_exception_fp_ieee_overflow 0
		.amdhsa_exception_fp_ieee_underflow 0
		.amdhsa_exception_fp_ieee_inexact 0
		.amdhsa_exception_int_div_zero 0
	.end_amdhsa_kernel
	.section	.text._ZL16k_set_rows_quantIi10block_q5_0Li32ETnPFvPKfPT0_EXadL_ZL23quantize_f32_q5_0_blockS2_PS0_EEEvS2_PKT_S4_llllllllllllll15HIP_vector_typeIjLj3EESC_SC_SC_SC_,"axG",@progbits,_ZL16k_set_rows_quantIi10block_q5_0Li32ETnPFvPKfPT0_EXadL_ZL23quantize_f32_q5_0_blockS2_PS0_EEEvS2_PKT_S4_llllllllllllll15HIP_vector_typeIjLj3EESC_SC_SC_SC_,comdat
.Lfunc_end14:
	.size	_ZL16k_set_rows_quantIi10block_q5_0Li32ETnPFvPKfPT0_EXadL_ZL23quantize_f32_q5_0_blockS2_PS0_EEEvS2_PKT_S4_llllllllllllll15HIP_vector_typeIjLj3EESC_SC_SC_SC_, .Lfunc_end14-_ZL16k_set_rows_quantIi10block_q5_0Li32ETnPFvPKfPT0_EXadL_ZL23quantize_f32_q5_0_blockS2_PS0_EEEvS2_PKT_S4_llllllllllllll15HIP_vector_typeIjLj3EESC_SC_SC_SC_
                                        ; -- End function
	.set _ZL16k_set_rows_quantIi10block_q5_0Li32ETnPFvPKfPT0_EXadL_ZL23quantize_f32_q5_0_blockS2_PS0_EEEvS2_PKT_S4_llllllllllllll15HIP_vector_typeIjLj3EESC_SC_SC_SC_.num_vgpr, 52
	.set _ZL16k_set_rows_quantIi10block_q5_0Li32ETnPFvPKfPT0_EXadL_ZL23quantize_f32_q5_0_blockS2_PS0_EEEvS2_PKT_S4_llllllllllllll15HIP_vector_typeIjLj3EESC_SC_SC_SC_.num_agpr, 0
	.set _ZL16k_set_rows_quantIi10block_q5_0Li32ETnPFvPKfPT0_EXadL_ZL23quantize_f32_q5_0_blockS2_PS0_EEEvS2_PKT_S4_llllllllllllll15HIP_vector_typeIjLj3EESC_SC_SC_SC_.numbered_sgpr, 32
	.set _ZL16k_set_rows_quantIi10block_q5_0Li32ETnPFvPKfPT0_EXadL_ZL23quantize_f32_q5_0_blockS2_PS0_EEEvS2_PKT_S4_llllllllllllll15HIP_vector_typeIjLj3EESC_SC_SC_SC_.num_named_barrier, 0
	.set _ZL16k_set_rows_quantIi10block_q5_0Li32ETnPFvPKfPT0_EXadL_ZL23quantize_f32_q5_0_blockS2_PS0_EEEvS2_PKT_S4_llllllllllllll15HIP_vector_typeIjLj3EESC_SC_SC_SC_.private_seg_size, 0
	.set _ZL16k_set_rows_quantIi10block_q5_0Li32ETnPFvPKfPT0_EXadL_ZL23quantize_f32_q5_0_blockS2_PS0_EEEvS2_PKT_S4_llllllllllllll15HIP_vector_typeIjLj3EESC_SC_SC_SC_.uses_vcc, 1
	.set _ZL16k_set_rows_quantIi10block_q5_0Li32ETnPFvPKfPT0_EXadL_ZL23quantize_f32_q5_0_blockS2_PS0_EEEvS2_PKT_S4_llllllllllllll15HIP_vector_typeIjLj3EESC_SC_SC_SC_.uses_flat_scratch, 0
	.set _ZL16k_set_rows_quantIi10block_q5_0Li32ETnPFvPKfPT0_EXadL_ZL23quantize_f32_q5_0_blockS2_PS0_EEEvS2_PKT_S4_llllllllllllll15HIP_vector_typeIjLj3EESC_SC_SC_SC_.has_dyn_sized_stack, 0
	.set _ZL16k_set_rows_quantIi10block_q5_0Li32ETnPFvPKfPT0_EXadL_ZL23quantize_f32_q5_0_blockS2_PS0_EEEvS2_PKT_S4_llllllllllllll15HIP_vector_typeIjLj3EESC_SC_SC_SC_.has_recursion, 0
	.set _ZL16k_set_rows_quantIi10block_q5_0Li32ETnPFvPKfPT0_EXadL_ZL23quantize_f32_q5_0_blockS2_PS0_EEEvS2_PKT_S4_llllllllllllll15HIP_vector_typeIjLj3EESC_SC_SC_SC_.has_indirect_call, 0
	.section	.AMDGPU.csdata,"",@progbits
; Kernel info:
; codeLenInByte = 2328
; TotalNumSgprs: 34
; NumVgprs: 52
; ScratchSize: 0
; MemoryBound: 0
; FloatMode: 240
; IeeeMode: 1
; LDSByteSize: 0 bytes/workgroup (compile time only)
; SGPRBlocks: 0
; VGPRBlocks: 3
; NumSGPRsForWavesPerEU: 34
; NumVGPRsForWavesPerEU: 52
; NamedBarCnt: 0
; Occupancy: 16
; WaveLimiterHint : 1
; COMPUTE_PGM_RSRC2:SCRATCH_EN: 0
; COMPUTE_PGM_RSRC2:USER_SGPR: 2
; COMPUTE_PGM_RSRC2:TRAP_HANDLER: 0
; COMPUTE_PGM_RSRC2:TGID_X_EN: 1
; COMPUTE_PGM_RSRC2:TGID_Y_EN: 0
; COMPUTE_PGM_RSRC2:TGID_Z_EN: 0
; COMPUTE_PGM_RSRC2:TIDIG_COMP_CNT: 0
	.section	.text._ZL16k_set_rows_quantIi10block_q5_1Li32ETnPFvPKfPT0_EXadL_ZL23quantize_f32_q5_1_blockS2_PS0_EEEvS2_PKT_S4_llllllllllllll15HIP_vector_typeIjLj3EESC_SC_SC_SC_,"axG",@progbits,_ZL16k_set_rows_quantIi10block_q5_1Li32ETnPFvPKfPT0_EXadL_ZL23quantize_f32_q5_1_blockS2_PS0_EEEvS2_PKT_S4_llllllllllllll15HIP_vector_typeIjLj3EESC_SC_SC_SC_,comdat
	.globl	_ZL16k_set_rows_quantIi10block_q5_1Li32ETnPFvPKfPT0_EXadL_ZL23quantize_f32_q5_1_blockS2_PS0_EEEvS2_PKT_S4_llllllllllllll15HIP_vector_typeIjLj3EESC_SC_SC_SC_ ; -- Begin function _ZL16k_set_rows_quantIi10block_q5_1Li32ETnPFvPKfPT0_EXadL_ZL23quantize_f32_q5_1_blockS2_PS0_EEEvS2_PKT_S4_llllllllllllll15HIP_vector_typeIjLj3EESC_SC_SC_SC_
	.p2align	8
	.type	_ZL16k_set_rows_quantIi10block_q5_1Li32ETnPFvPKfPT0_EXadL_ZL23quantize_f32_q5_1_blockS2_PS0_EEEvS2_PKT_S4_llllllllllllll15HIP_vector_typeIjLj3EESC_SC_SC_SC_,@function
_ZL16k_set_rows_quantIi10block_q5_1Li32ETnPFvPKfPT0_EXadL_ZL23quantize_f32_q5_1_blockS2_PS0_EEEvS2_PKT_S4_llllllllllllll15HIP_vector_typeIjLj3EESC_SC_SC_SC_: ; @_ZL16k_set_rows_quantIi10block_q5_1Li32ETnPFvPKfPT0_EXadL_ZL23quantize_f32_q5_1_blockS2_PS0_EEEvS2_PKT_S4_llllllllllllll15HIP_vector_typeIjLj3EESC_SC_SC_SC_
; %bb.0:
	s_clause 0x1
	s_load_b32 s4, s[0:1], 0xd4
	s_load_b64 s[2:3], s[0:1], 0x18
	s_bfe_u32 s5, ttmp6, 0x4000c
	s_and_b32 s6, ttmp6, 15
	s_add_co_i32 s5, s5, 1
	s_getreg_b32 s7, hwreg(HW_REG_IB_STS2, 6, 4)
	s_mul_i32 s5, ttmp9, s5
	v_mov_b32_e32 v1, 0
	s_add_co_i32 s6, s6, s5
	s_wait_kmcnt 0x0
	s_and_b32 s4, s4, 0xffff
	s_cmp_eq_u32 s7, 0
	s_cselect_b32 s5, ttmp9, s6
	s_delay_alu instid0(SALU_CYCLE_1) | instskip(NEXT) | instid1(VALU_DEP_1)
	v_mad_nc_u64_u32 v[2:3], s4, s5, v[0:1]
	v_cmp_gt_i64_e32 vcc_lo, s[2:3], v[2:3]
	s_mov_b32 s3, 0
	s_and_saveexec_b32 s2, vcc_lo
	s_cbranch_execz .LBB15_4
; %bb.1:
	s_load_b256 s[20:27], s[0:1], 0x88
	v_lshlrev_b32_e32 v0, 5, v2
	s_clause 0x1
	s_load_b128 s[28:31], s[0:1], 0xa8
	s_load_b512 s[4:19], s[0:1], 0x40
	v_dual_mov_b32 v3, v1 :: v_dual_mov_b32 v27, v1
	v_mov_b32_e32 v25, v1
	s_wait_kmcnt 0x0
	v_mul_hi_u32 v2, s20, v0
	s_delay_alu instid0(VALU_DEP_1) | instskip(NEXT) | instid1(VALU_DEP_1)
	v_add_nc_u32_e32 v2, v0, v2
	v_lshrrev_b32_e32 v10, s21, v2
	s_delay_alu instid0(VALU_DEP_1) | instskip(NEXT) | instid1(VALU_DEP_1)
	v_mul_hi_u32 v2, v10, s23
	v_add_nc_u32_e32 v2, v10, v2
	s_delay_alu instid0(VALU_DEP_1) | instskip(NEXT) | instid1(VALU_DEP_1)
	v_lshrrev_b32_e32 v6, s24, v2
	v_mul_hi_u32 v2, v6, s26
	s_delay_alu instid0(VALU_DEP_1) | instskip(NEXT) | instid1(VALU_DEP_1)
	v_add_nc_u32_e32 v2, v6, v2
	v_lshrrev_b32_e32 v24, s27, v2
	v_mul_lo_u32 v4, v6, s25
	s_delay_alu instid0(VALU_DEP_2) | instskip(SKIP_2) | instid1(VALU_DEP_3)
	v_mul_lo_u32 v7, v24, s28
	v_mul_u64_e32 v[8:9], s[8:9], v[24:25]
	s_load_b64 s[8:9], s[0:1], 0x10
	v_sub_nc_u32_e32 v2, v10, v4
	v_mul_lo_u32 v10, v10, s22
	s_load_b96 s[20:22], s[0:1], 0xb8
	s_delay_alu instid0(VALU_DEP_4) | instskip(NEXT) | instid1(VALU_DEP_3)
	v_sub_nc_u32_e32 v26, v6, v7
	v_mul_u64_e32 v[4:5], s[4:5], v[2:3]
	v_mul_u64_e32 v[2:3], s[10:11], v[2:3]
	s_delay_alu instid0(VALU_DEP_3) | instskip(SKIP_4) | instid1(VALU_DEP_1)
	v_mul_u64_e32 v[6:7], s[6:7], v[26:27]
	s_load_b128 s[4:7], s[0:1], 0x0
	v_sub_nc_u32_e32 v0, v0, v10
	s_wait_xcnt 0x0
	s_load_b64 s[0:1], s[0:1], 0x80
	v_lshlrev_b64_e32 v[22:23], 2, v[0:1]
	v_lshlrev_b64_e32 v[20:21], 2, v[8:9]
	v_lshlrev_b64_e32 v[16:17], 2, v[4:5]
	s_wait_kmcnt 0x0
	v_lshl_add_u64 v[2:3], v[2:3], 2, s[6:7]
	v_lshlrev_b64_e32 v[18:19], 2, v[6:7]
	v_mov_b32_e32 v7, v1
	s_delay_alu instid0(VALU_DEP_4) | instskip(NEXT) | instid1(VALU_DEP_1)
	v_add_nc_u64_e32 v[4:5], s[4:5], v[16:17]
	v_add_nc_u64_e32 v[4:5], v[4:5], v[18:19]
	s_delay_alu instid0(VALU_DEP_1) | instskip(NEXT) | instid1(VALU_DEP_1)
	v_add_nc_u64_e32 v[4:5], v[4:5], v[20:21]
	v_add_nc_u64_e32 v[14:15], v[4:5], v[22:23]
	v_mul_hi_u32 v4, v26, s29
	v_mul_hi_u32 v5, v24, s20
	s_clause 0x3
	global_load_b128 v[28:31], v[14:15], off
	global_load_b128 v[32:35], v[14:15], off offset:16
	global_load_b128 v[36:39], v[14:15], off offset:32
	;; [unrolled: 1-line block ×3, first 2 shown]
	v_dual_add_nc_u32 v4, v26, v4 :: v_dual_add_nc_u32 v5, v24, v5
	v_lshrrev_b32_e32 v0, 5, v0
	s_delay_alu instid0(VALU_DEP_2) | instskip(NEXT) | instid1(VALU_DEP_1)
	v_lshrrev_b32_e32 v4, s30, v4
	v_mul_lo_u32 v4, v4, s31
	s_delay_alu instid0(VALU_DEP_1) | instskip(NEXT) | instid1(VALU_DEP_1)
	v_dual_lshrrev_b32 v5, s21, v5 :: v_dual_sub_nc_u32 v4, v26, v4
	v_mul_lo_u32 v6, v5, s22
	v_mov_b32_e32 v5, v1
	s_delay_alu instid0(VALU_DEP_1) | instskip(NEXT) | instid1(VALU_DEP_1)
	v_mul_u64_e32 v[4:5], s[12:13], v[4:5]
	v_lshl_add_u64 v[2:3], v[4:5], 2, v[2:3]
	s_wait_loadcnt 0x3
	v_cmp_gt_f32_e32 vcc_lo, v28, v29
	v_cndmask_b32_e32 v25, v28, v29, vcc_lo
	v_cmp_gt_f32_e32 vcc_lo, v29, v28
	v_cndmask_b32_e32 v27, v28, v29, vcc_lo
	s_delay_alu instid0(VALU_DEP_3) | instskip(SKIP_1) | instid1(VALU_DEP_3)
	v_cmp_gt_f32_e32 vcc_lo, v25, v30
	v_cndmask_b32_e32 v25, v25, v30, vcc_lo
	v_cmp_gt_f32_e32 vcc_lo, v30, v27
	v_cndmask_b32_e32 v27, v27, v30, vcc_lo
	s_delay_alu instid0(VALU_DEP_3) | instskip(SKIP_1) | instid1(VALU_DEP_1)
	v_cmp_gt_f32_e32 vcc_lo, v25, v31
	v_dual_cndmask_b32 v25, v25, v31 :: v_dual_sub_nc_u32 v6, v24, v6
	v_mul_u64_e32 v[10:11], s[14:15], v[6:7]
	global_load_b128 v[6:9], v[14:15], off offset:48
	v_cmp_gt_f32_e32 vcc_lo, v31, v27
	v_cndmask_b32_e32 v27, v27, v31, vcc_lo
	s_wait_loadcnt 0x3
	v_cmp_gt_f32_e32 vcc_lo, v25, v32
	v_cndmask_b32_e32 v25, v25, v32, vcc_lo
	s_delay_alu instid0(VALU_DEP_3) | instskip(SKIP_1) | instid1(VALU_DEP_3)
	v_cmp_gt_f32_e32 vcc_lo, v32, v27
	v_cndmask_b32_e32 v27, v27, v32, vcc_lo
	v_cmp_gt_f32_e32 vcc_lo, v25, v33
	v_cndmask_b32_e32 v25, v25, v33, vcc_lo
	s_delay_alu instid0(VALU_DEP_3)
	v_cmp_gt_f32_e32 vcc_lo, v33, v27
	v_cndmask_b32_e32 v27, v27, v33, vcc_lo
	v_lshl_add_u64 v[48:49], v[10:11], 2, v[2:3]
	global_load_b32 v50, v[48:49], off
	s_clause 0x2
	global_load_b128 v[44:47], v[14:15], off offset:80
	global_load_b128 v[10:13], v[14:15], off offset:96
	;; [unrolled: 1-line block ×3, first 2 shown]
	v_cmp_gt_f32_e32 vcc_lo, v25, v34
	v_cndmask_b32_e32 v25, v25, v34, vcc_lo
	v_cmp_gt_f32_e32 vcc_lo, v34, v27
	v_cndmask_b32_e32 v27, v27, v34, vcc_lo
	s_delay_alu instid0(VALU_DEP_3) | instskip(SKIP_1) | instid1(VALU_DEP_3)
	v_cmp_gt_f32_e32 vcc_lo, v25, v35
	v_cndmask_b32_e32 v25, v25, v35, vcc_lo
	v_cmp_gt_f32_e32 vcc_lo, v35, v27
	v_cndmask_b32_e32 v27, v27, v35, vcc_lo
	s_wait_loadcnt 0x6
	s_delay_alu instid0(VALU_DEP_3) | instskip(SKIP_1) | instid1(VALU_DEP_3)
	v_cmp_gt_f32_e32 vcc_lo, v25, v36
	v_cndmask_b32_e32 v25, v25, v36, vcc_lo
	v_cmp_gt_f32_e32 vcc_lo, v36, v27
	v_cndmask_b32_e32 v27, v27, v36, vcc_lo
	s_delay_alu instid0(VALU_DEP_3) | instskip(SKIP_1) | instid1(VALU_DEP_3)
	v_cmp_lt_f32_e32 vcc_lo, v37, v25
	v_cndmask_b32_e32 v25, v25, v37, vcc_lo
	v_cmp_gt_f32_e32 vcc_lo, v37, v27
	v_cndmask_b32_e32 v27, v27, v37, vcc_lo
	s_delay_alu instid0(VALU_DEP_3) | instskip(SKIP_1) | instid1(VALU_DEP_3)
	v_cmp_gt_f32_e32 vcc_lo, v25, v38
	v_cndmask_b32_e32 v25, v25, v38, vcc_lo
	v_cmp_gt_f32_e32 vcc_lo, v38, v27
	v_cndmask_b32_e32 v27, v27, v38, vcc_lo
	s_delay_alu instid0(VALU_DEP_3) | instskip(SKIP_1) | instid1(VALU_DEP_3)
	v_cmp_gt_f32_e32 vcc_lo, v25, v39
	v_cndmask_b32_e32 v25, v25, v39, vcc_lo
	v_cmp_gt_f32_e32 vcc_lo, v39, v27
	v_cndmask_b32_e32 v27, v27, v39, vcc_lo
	s_wait_loadcnt 0x4
	s_delay_alu instid0(VALU_DEP_3) | instskip(SKIP_1) | instid1(VALU_DEP_3)
	v_cmp_gt_f32_e32 vcc_lo, v25, v6
	v_cndmask_b32_e32 v25, v25, v6, vcc_lo
	v_cmp_gt_f32_e32 vcc_lo, v6, v27
	v_cndmask_b32_e32 v6, v27, v6, vcc_lo
	s_delay_alu instid0(VALU_DEP_3) | instskip(SKIP_1) | instid1(VALU_DEP_3)
	v_cmp_gt_f32_e32 vcc_lo, v25, v7
	v_cndmask_b32_e32 v25, v25, v7, vcc_lo
	v_cmp_gt_f32_e32 vcc_lo, v7, v6
	v_cndmask_b32_e32 v6, v6, v7, vcc_lo
	s_delay_alu instid0(VALU_DEP_3) | instskip(SKIP_1) | instid1(VALU_DEP_3)
	v_cmp_gt_f32_e32 vcc_lo, v25, v8
	v_cndmask_b32_e32 v7, v25, v8, vcc_lo
	v_cmp_gt_f32_e32 vcc_lo, v8, v6
	s_wait_loadcnt 0x3
	v_dual_cndmask_b32 v6, v6, v8 :: v_dual_ashrrev_i32 v51, 31, v50
	s_delay_alu instid0(VALU_DEP_3) | instskip(SKIP_1) | instid1(VALU_DEP_3)
	v_cmp_gt_f32_e32 vcc_lo, v7, v9
	v_cndmask_b32_e32 v7, v7, v9, vcc_lo
	v_cmp_gt_f32_e32 vcc_lo, v9, v6
	v_cndmask_b32_e32 v6, v6, v9, vcc_lo
	s_delay_alu instid0(VALU_DEP_3) | instskip(SKIP_1) | instid1(VALU_DEP_3)
	v_cmp_gt_f32_e32 vcc_lo, v7, v40
	v_cndmask_b32_e32 v7, v7, v40, vcc_lo
	v_cmp_gt_f32_e32 vcc_lo, v40, v6
	v_cndmask_b32_e32 v6, v6, v40, vcc_lo
	;; [unrolled: 5-line block ×3, first 2 shown]
	s_delay_alu instid0(VALU_DEP_3) | instskip(SKIP_2) | instid1(VALU_DEP_4)
	v_cmp_gt_f32_e32 vcc_lo, v8, v42
	v_mul_u64_e32 v[6:7], s[16:17], v[50:51]
	v_cndmask_b32_e32 v8, v8, v42, vcc_lo
	v_cmp_gt_f32_e32 vcc_lo, v42, v9
	v_cndmask_b32_e32 v9, v9, v42, vcc_lo
	s_delay_alu instid0(VALU_DEP_3) | instskip(SKIP_1) | instid1(VALU_DEP_3)
	v_cmp_gt_f32_e32 vcc_lo, v8, v43
	v_cndmask_b32_e32 v8, v8, v43, vcc_lo
	v_cmp_gt_f32_e32 vcc_lo, v43, v9
	v_cndmask_b32_e32 v9, v9, v43, vcc_lo
	s_wait_loadcnt 0x2
	s_delay_alu instid0(VALU_DEP_3) | instskip(SKIP_1) | instid1(VALU_DEP_3)
	v_cmp_lt_f32_e32 vcc_lo, v44, v8
	v_cndmask_b32_e32 v8, v8, v44, vcc_lo
	v_cmp_gt_f32_e32 vcc_lo, v44, v9
	v_mad_nc_u64_u32 v[6:7], s0, v24, v[6:7]
	v_cndmask_b32_e32 v9, v9, v44, vcc_lo
	s_delay_alu instid0(VALU_DEP_4) | instskip(SKIP_1) | instid1(VALU_DEP_3)
	v_cmp_gt_f32_e32 vcc_lo, v8, v45
	v_cndmask_b32_e32 v8, v8, v45, vcc_lo
	v_cmp_gt_f32_e32 vcc_lo, v45, v9
	v_mad_u32 v7, s1, v24, v7
	s_mov_b64 s[0:1], 0xaaaaaaab
	v_cndmask_b32_e32 v9, v9, v45, vcc_lo
	v_cmp_gt_f32_e32 vcc_lo, v8, v46
	v_cndmask_b32_e32 v8, v8, v46, vcc_lo
	s_delay_alu instid0(VALU_DEP_3) | instskip(SKIP_2) | instid1(VALU_DEP_4)
	v_cmp_gt_f32_e32 vcc_lo, v46, v9
	v_mad_nc_u64_u32 v[6:7], s18, v26, v[6:7]
	v_cndmask_b32_e32 v9, v9, v46, vcc_lo
	v_cmp_gt_f32_e32 vcc_lo, v8, v47
	v_cndmask_b32_e32 v8, v8, v47, vcc_lo
	s_delay_alu instid0(VALU_DEP_3) | instskip(SKIP_2) | instid1(VALU_DEP_3)
	v_cmp_gt_f32_e32 vcc_lo, v47, v9
	v_cndmask_b32_e32 v9, v9, v47, vcc_lo
	s_wait_loadcnt 0x1
	v_cmp_gt_f32_e32 vcc_lo, v8, v10
	v_cndmask_b32_e32 v8, v8, v10, vcc_lo
	s_delay_alu instid0(VALU_DEP_3) | instskip(SKIP_1) | instid1(VALU_DEP_3)
	v_cmp_gt_f32_e32 vcc_lo, v10, v9
	v_cndmask_b32_e32 v9, v9, v10, vcc_lo
	v_cmp_gt_f32_e32 vcc_lo, v8, v11
	v_cndmask_b32_e32 v8, v8, v11, vcc_lo
	s_delay_alu instid0(VALU_DEP_3) | instskip(SKIP_1) | instid1(VALU_DEP_3)
	v_cmp_gt_f32_e32 vcc_lo, v11, v9
	v_cndmask_b32_e32 v9, v9, v11, vcc_lo
	;; [unrolled: 5-line block ×3, first 2 shown]
	v_cmp_gt_f32_e32 vcc_lo, v8, v13
	v_cndmask_b32_e32 v8, v8, v13, vcc_lo
	s_delay_alu instid0(VALU_DEP_3) | instskip(SKIP_2) | instid1(VALU_DEP_3)
	v_cmp_gt_f32_e32 vcc_lo, v13, v9
	v_cndmask_b32_e32 v9, v9, v13, vcc_lo
	s_wait_loadcnt 0x0
	v_cmp_gt_f32_e32 vcc_lo, v8, v2
	v_cndmask_b32_e32 v8, v8, v2, vcc_lo
	s_delay_alu instid0(VALU_DEP_3) | instskip(SKIP_1) | instid1(VALU_DEP_3)
	v_cmp_gt_f32_e32 vcc_lo, v2, v9
	v_cndmask_b32_e32 v2, v9, v2, vcc_lo
	v_cmp_gt_f32_e32 vcc_lo, v8, v3
	v_mad_u32 v9, s19, v26, v7
	v_cndmask_b32_e32 v8, v8, v3, vcc_lo
	s_delay_alu instid0(VALU_DEP_4) | instskip(SKIP_1) | instid1(VALU_DEP_3)
	v_cmp_gt_f32_e32 vcc_lo, v3, v2
	v_cndmask_b32_e32 v2, v2, v3, vcc_lo
	v_cmp_gt_f32_e32 vcc_lo, v8, v4
	v_dual_mov_b32 v7, v1 :: v_dual_cndmask_b32 v8, v8, v4
	s_delay_alu instid0(VALU_DEP_3) | instskip(SKIP_1) | instid1(VALU_DEP_3)
	v_cmp_gt_f32_e32 vcc_lo, v4, v2
	v_cndmask_b32_e32 v4, v2, v4, vcc_lo
	v_cmp_gt_f32_e32 vcc_lo, v8, v5
	s_delay_alu instid0(VALU_DEP_4) | instskip(SKIP_4) | instid1(VALU_DEP_1)
	v_mul_u64_e32 v[2:3], s[0:1], v[6:7]
	s_mov_b64 s[0:1], 0
	v_cndmask_b32_e32 v8, v8, v5, vcc_lo
	v_cmp_gt_f32_e32 vcc_lo, v5, v4
	v_dual_cndmask_b32 v2, v4, v5 :: v_dual_mov_b32 v5, v1
	v_sub_f32_e32 v7, v2, v8
	s_delay_alu instid0(VALU_DEP_1) | instskip(NEXT) | instid1(VALU_DEP_1)
	v_div_scale_f32 v10, null, 0x41f80000, 0x41f80000, v7
	v_rcp_f32_e32 v11, v10
	v_nop
	s_delay_alu instid0(TRANS32_DEP_1) | instskip(NEXT) | instid1(VALU_DEP_1)
	v_fma_f32 v2, -v10, v11, 1.0
	v_fmac_f32_e32 v11, v2, v11
	v_div_scale_f32 v12, vcc_lo, v7, 0x41f80000, v7
	s_delay_alu instid0(VALU_DEP_1) | instskip(NEXT) | instid1(VALU_DEP_1)
	v_dual_mov_b32 v4, v3 :: v_dual_mul_f32 v13, v12, v11
	v_mad_nc_u64_u32 v[2:3], 0xaaaaaaab, v9, v[4:5]
	s_delay_alu instid0(VALU_DEP_2) | instskip(NEXT) | instid1(VALU_DEP_1)
	v_fma_f32 v4, -v10, v13, v12
	v_dual_fmac_f32 v13, v4, v11 :: v_dual_mov_b32 v4, v3
	s_delay_alu instid0(VALU_DEP_1) | instskip(NEXT) | instid1(VALU_DEP_1)
	v_dual_mov_b32 v3, v1 :: v_dual_fma_f32 v5, -v10, v13, v12
	v_mad_nc_u64_u32 v[2:3], 0xaaaaaaaa, v6, v[2:3]
	s_delay_alu instid0(VALU_DEP_2) | instskip(SKIP_1) | instid1(VALU_DEP_2)
	v_div_fmas_f32 v5, v5, v11, v13
	v_mul_u64_e32 v[12:13], 24, v[0:1]
	v_div_fixup_f32 v11, v5, 0x41f80000, v7
	v_dual_mov_b32 v5, v1 :: v_dual_mov_b32 v7, v1
	v_mov_b32_e32 v6, v3
	s_delay_alu instid0(VALU_DEP_3) | instskip(NEXT) | instid1(VALU_DEP_2)
	v_div_scale_f32 v10, null, v11, v11, 1.0
	v_add_nc_u64_e32 v[2:3], v[4:5], v[6:7]
	s_delay_alu instid0(VALU_DEP_2) | instskip(SKIP_1) | instid1(VALU_DEP_2)
	v_rcp_f32_e32 v0, v10
	v_add_nc_u64_e32 v[4:5], v[20:21], v[18:19]
	v_mad_nc_u64_u32 v[2:3], 0xaaaaaaaa, v9, v[2:3]
	s_delay_alu instid0(TRANS32_DEP_1) | instskip(SKIP_1) | instid1(VALU_DEP_4)
	v_fma_f32 v6, -v10, v0, 1.0
	v_div_scale_f32 v9, vcc_lo, 1.0, v11, 1.0
	v_add_nc_u64_e32 v[4:5], v[4:5], v[16:17]
	s_delay_alu instid0(VALU_DEP_3) | instskip(SKIP_1) | instid1(VALU_DEP_2)
	v_dual_fmac_f32 v0, v6, v0 :: v_dual_lshrrev_b32 v17, 4, v3
	v_alignbit_b32 v16, v3, v2, 4
	v_mul_f32_e32 v18, v9, v0
	s_delay_alu instid0(VALU_DEP_4) | instskip(NEXT) | instid1(VALU_DEP_4)
	v_add_nc_u64_e32 v[2:3], v[4:5], v[22:23]
	v_mul_lo_u32 v4, v17, 24
	s_delay_alu instid0(VALU_DEP_4) | instskip(NEXT) | instid1(VALU_DEP_4)
	v_mad_nc_u64_u32 v[6:7], v16, 24, s[8:9]
	v_fma_f32 v19, -v10, v18, v9
	v_mad_nc_u64_u32 v[16:17], v16, 24, v[12:13]
	v_add_nc_u64_e32 v[2:3], s[4:5], v[2:3]
	s_delay_alu instid0(VALU_DEP_3) | instskip(NEXT) | instid1(VALU_DEP_1)
	v_dual_fmac_f32 v18, v19, v0 :: v_dual_add_nc_u32 v7, v4, v7
	v_dual_fma_f32 v5, -v10, v18, v9 :: v_dual_add_nc_u32 v17, v4, v17
	v_dual_mov_b32 v10, 0 :: v_dual_mov_b32 v9, 0
	s_delay_alu instid0(VALU_DEP_2)
	v_div_fmas_f32 v0, v5, v0, v18
	v_cmp_neq_f32_e32 vcc_lo, 0, v11
	v_add_nc_u64_e32 v[4:5], 64, v[2:3]
	v_add_nc_u64_e32 v[2:3], v[6:7], v[12:13]
	;; [unrolled: 1-line block ×3, first 2 shown]
	v_div_fixup_f32 v0, v0, v11, 1.0
	v_cvt_pk_f16_f32 v12, v11, v8
	s_delay_alu instid0(VALU_DEP_2)
	v_cndmask_b32_e32 v0, 0, v0, vcc_lo
	global_store_b32 v[2:3], v12, off
.LBB15_2:                               ; =>This Inner Loop Header: Depth=1
	s_or_b32 s2, s0, 17
	s_delay_alu instid0(VALU_DEP_2)
	v_and_b32_e32 v10, 0xff0000, v10
	s_wait_xcnt 0x0
	v_lshl_add_u64 v[12:13], s[2:3], 2, v[14:15]
	v_and_b32_e32 v1, 0xffff, v1
	s_add_co_i32 s4, s0, 16
	s_add_co_i32 s5, s0, 1
	;; [unrolled: 1-line block ×3, first 2 shown]
	global_load_b32 v11, v[12:13], off
	v_or3_b32 v1, v10, v9, v1
	s_add_co_i32 s7, s0, 3
	s_wait_loadcnt 0x0
	v_sub_f32_e32 v11, v11, v8
	s_delay_alu instid0(VALU_DEP_1) | instskip(NEXT) | instid1(VALU_DEP_1)
	v_fma_f32 v11, v0, v11, 0.5
	v_cvt_i32_f32_e32 v11, v11
	s_wait_xcnt 0x0
	s_delay_alu instid0(VALU_DEP_1) | instskip(SKIP_1) | instid1(VALU_DEP_2)
	v_lshrrev_b16 v12, 4, v11
	v_lshlrev_b16 v11, 12, v11
	v_and_b32_e32 v12, 1, v12
	s_delay_alu instid0(VALU_DEP_1) | instskip(NEXT) | instid1(VALU_DEP_1)
	v_and_b32_e32 v12, 0xffff, v12
	v_lshlrev_b32_e32 v20, s2, v12
	s_or_b32 s2, s0, 18
	s_delay_alu instid0(SALU_CYCLE_1)
	v_lshl_add_u64 v[12:13], s[2:3], 2, v[14:15]
	global_load_b32 v16, v[12:13], off
	global_load_b32 v21, v[4:5], off
	s_wait_loadcnt 0x1
	s_wait_xcnt 0x1
	v_sub_f32_e32 v12, v16, v8
	global_load_b128 v[16:19], v[4:5], off offset:-64
	s_wait_loadcnt 0x1
	v_sub_f32_e32 v9, v21, v8
	s_wait_xcnt 0x0
	v_add_nc_u64_e32 v[4:5], 16, v[4:5]
	v_fma_f32 v12, v0, v12, 0.5
	s_delay_alu instid0(VALU_DEP_1) | instskip(NEXT) | instid1(VALU_DEP_1)
	v_cvt_i32_f32_e32 v22, v12
	v_lshrrev_b16 v12, 4, v22
	s_delay_alu instid0(VALU_DEP_1) | instskip(NEXT) | instid1(VALU_DEP_1)
	v_and_b32_e32 v12, 1, v12
	v_and_b32_e32 v12, 0xffff, v12
	s_wait_loadcnt 0x0
	v_sub_f32_e32 v10, v16, v8
	v_fma_f32 v9, v0, v9, 0.5
	v_dual_sub_f32 v16, v17, v8 :: v_dual_sub_f32 v17, v18, v8
	s_delay_alu instid0(VALU_DEP_3) | instskip(NEXT) | instid1(VALU_DEP_3)
	v_fma_f32 v10, v0, v10, 0.5
	v_cvt_i32_f32_e32 v9, v9
	s_delay_alu instid0(VALU_DEP_3) | instskip(NEXT) | instid1(VALU_DEP_4)
	v_fma_f32 v16, v0, v16, 0.5
	v_fma_f32 v17, v0, v17, 0.5
	s_delay_alu instid0(VALU_DEP_4) | instskip(NEXT) | instid1(VALU_DEP_3)
	v_cvt_i32_f32_e32 v10, v10
	v_cvt_i32_f32_e32 v16, v16
	s_delay_alu instid0(VALU_DEP_3) | instskip(NEXT) | instid1(VALU_DEP_3)
	v_cvt_i32_f32_e32 v17, v17
	v_lshrrev_b16 v21, 4, v10
	v_sub_f32_e32 v18, v19, v8
	v_lshlrev_b16 v19, 4, v9
	v_lshrrev_b16 v9, 4, v9
	v_lshrrev_b16 v26, 4, v17
	s_delay_alu instid0(VALU_DEP_3) | instskip(SKIP_2) | instid1(VALU_DEP_4)
	v_bitop3_b16 v10, v19, v10, 15 bitop3:0xf8
	v_and_b32_e32 v19, 1, v21
	v_fma_f32 v18, v0, v18, 0.5
	v_and_b32_e32 v21, 1, v26
	s_delay_alu instid0(VALU_DEP_3) | instskip(NEXT) | instid1(VALU_DEP_3)
	v_and_b32_e32 v19, 0xffff, v19
	v_cvt_i32_f32_e32 v18, v18
	v_lshlrev_b32_e32 v23, s2, v12
	s_or_b32 s2, s0, 19
	v_and_b32_e32 v21, 0xffff, v21
	v_lshl_add_u64 v[12:13], s[2:3], 2, v[14:15]
	v_dual_lshlrev_b32 v19, s0, v19 :: v_dual_bitop2_b32 v27, 15, v18 bitop3:0x40
	v_lshrrev_b16 v18, 4, v18
	s_delay_alu instid0(VALU_DEP_4)
	v_lshlrev_b32_e32 v21, s6, v21
	global_load_b32 v24, v[12:13], off
	v_and_b32_e32 v9, 1, v9
	v_lshlrev_b16 v26, 8, v27
	s_wait_xcnt 0x0
	v_add_nc_u64_e32 v[12:13], s[0:1], v[6:7]
	s_add_nc_u64 s[0:1], s[0:1], 4
	s_delay_alu instid0(SALU_CYCLE_1)
	s_cmp_lg_u32 s0, 16
	s_wait_loadcnt 0x0
	v_sub_f32_e32 v24, v24, v8
	v_and_b32_e32 v9, 0xffff, v9
	v_and_b32_e32 v25, 15, v16
	v_lshrrev_b16 v16, 4, v16
	s_delay_alu instid0(VALU_DEP_4) | instskip(NEXT) | instid1(VALU_DEP_4)
	v_fma_f32 v24, v0, v24, 0.5
	v_lshlrev_b32_e32 v9, s4, v9
	s_delay_alu instid0(VALU_DEP_4) | instskip(NEXT) | instid1(VALU_DEP_4)
	v_lshlrev_b16 v25, 8, v25
	v_and_b32_e32 v16, 1, v16
	s_delay_alu instid0(VALU_DEP_4) | instskip(NEXT) | instid1(VALU_DEP_4)
	v_cvt_i32_f32_e32 v24, v24
	v_or3_b32 v1, v19, v1, v9
	v_lshlrev_b16 v9, 4, v22
	s_delay_alu instid0(VALU_DEP_4)
	v_and_b32_e32 v16, 0xffff, v16
	v_or_b32_e32 v11, v11, v25
	v_lshrrev_b16 v22, 4, v24
	v_lshlrev_b16 v19, 12, v24
	v_bitop3_b16 v9, v9, v17, 15 bitop3:0xf8
	v_lshlrev_b32_e32 v16, s5, v16
	v_bitop3_b16 v10, v10, v11, 0xff bitop3:0xec
	v_and_b32_e32 v17, 1, v22
	s_delay_alu instid0(VALU_DEP_3) | instskip(NEXT) | instid1(VALU_DEP_3)
	v_or3_b32 v1, v16, v1, v20
	v_and_b32_e32 v10, 0xffff, v10
	s_delay_alu instid0(VALU_DEP_3) | instskip(SKIP_1) | instid1(VALU_DEP_4)
	v_and_b32_e32 v11, 0xffff, v17
	v_or_b32_e32 v16, v19, v26
	v_or3_b32 v1, v21, v1, v23
	s_delay_alu instid0(VALU_DEP_3) | instskip(NEXT) | instid1(VALU_DEP_3)
	v_lshlrev_b32_e32 v11, s2, v11
	v_bitop3_b16 v9, v9, v16, 0xff bitop3:0xec
	s_delay_alu instid0(VALU_DEP_1) | instskip(NEXT) | instid1(VALU_DEP_1)
	v_dual_lshlrev_b32 v9, 16, v9 :: v_dual_bitop2_b32 v18, 1, v18 bitop3:0x40
	v_and_b32_e32 v18, 0xffff, v18
	s_delay_alu instid0(VALU_DEP_2) | instskip(NEXT) | instid1(VALU_DEP_2)
	v_or_b32_e32 v16, v10, v9
	v_lshl_or_b32 v1, v18, s7, v1
	global_store_b32 v[12:13], v16, off offset:8
	v_or_b32_e32 v10, v1, v11
	v_bitop3_b32 v9, v1, 0xff000000, v11 bitop3:0xc8
	s_cbranch_scc1 .LBB15_2
; %bb.3:
	s_delay_alu instid0(VALU_DEP_2)
	v_bfi_b32 v0, 0xffff, v1, v10
	global_store_b32 v[2:3], v0, off offset:4
.LBB15_4:
	s_endpgm
	.section	.rodata,"a",@progbits
	.p2align	6, 0x0
	.amdhsa_kernel _ZL16k_set_rows_quantIi10block_q5_1Li32ETnPFvPKfPT0_EXadL_ZL23quantize_f32_q5_1_blockS2_PS0_EEEvS2_PKT_S4_llllllllllllll15HIP_vector_typeIjLj3EESC_SC_SC_SC_
		.amdhsa_group_segment_fixed_size 0
		.amdhsa_private_segment_fixed_size 0
		.amdhsa_kernarg_size 456
		.amdhsa_user_sgpr_count 2
		.amdhsa_user_sgpr_dispatch_ptr 0
		.amdhsa_user_sgpr_queue_ptr 0
		.amdhsa_user_sgpr_kernarg_segment_ptr 1
		.amdhsa_user_sgpr_dispatch_id 0
		.amdhsa_user_sgpr_kernarg_preload_length 0
		.amdhsa_user_sgpr_kernarg_preload_offset 0
		.amdhsa_user_sgpr_private_segment_size 0
		.amdhsa_wavefront_size32 1
		.amdhsa_uses_dynamic_stack 0
		.amdhsa_enable_private_segment 0
		.amdhsa_system_sgpr_workgroup_id_x 1
		.amdhsa_system_sgpr_workgroup_id_y 0
		.amdhsa_system_sgpr_workgroup_id_z 0
		.amdhsa_system_sgpr_workgroup_info 0
		.amdhsa_system_vgpr_workitem_id 0
		.amdhsa_next_free_vgpr 52
		.amdhsa_next_free_sgpr 32
		.amdhsa_named_barrier_count 0
		.amdhsa_reserve_vcc 1
		.amdhsa_float_round_mode_32 0
		.amdhsa_float_round_mode_16_64 0
		.amdhsa_float_denorm_mode_32 3
		.amdhsa_float_denorm_mode_16_64 3
		.amdhsa_fp16_overflow 0
		.amdhsa_memory_ordered 1
		.amdhsa_forward_progress 1
		.amdhsa_inst_pref_size 20
		.amdhsa_round_robin_scheduling 0
		.amdhsa_exception_fp_ieee_invalid_op 0
		.amdhsa_exception_fp_denorm_src 0
		.amdhsa_exception_fp_ieee_div_zero 0
		.amdhsa_exception_fp_ieee_overflow 0
		.amdhsa_exception_fp_ieee_underflow 0
		.amdhsa_exception_fp_ieee_inexact 0
		.amdhsa_exception_int_div_zero 0
	.end_amdhsa_kernel
	.section	.text._ZL16k_set_rows_quantIi10block_q5_1Li32ETnPFvPKfPT0_EXadL_ZL23quantize_f32_q5_1_blockS2_PS0_EEEvS2_PKT_S4_llllllllllllll15HIP_vector_typeIjLj3EESC_SC_SC_SC_,"axG",@progbits,_ZL16k_set_rows_quantIi10block_q5_1Li32ETnPFvPKfPT0_EXadL_ZL23quantize_f32_q5_1_blockS2_PS0_EEEvS2_PKT_S4_llllllllllllll15HIP_vector_typeIjLj3EESC_SC_SC_SC_,comdat
.Lfunc_end15:
	.size	_ZL16k_set_rows_quantIi10block_q5_1Li32ETnPFvPKfPT0_EXadL_ZL23quantize_f32_q5_1_blockS2_PS0_EEEvS2_PKT_S4_llllllllllllll15HIP_vector_typeIjLj3EESC_SC_SC_SC_, .Lfunc_end15-_ZL16k_set_rows_quantIi10block_q5_1Li32ETnPFvPKfPT0_EXadL_ZL23quantize_f32_q5_1_blockS2_PS0_EEEvS2_PKT_S4_llllllllllllll15HIP_vector_typeIjLj3EESC_SC_SC_SC_
                                        ; -- End function
	.set _ZL16k_set_rows_quantIi10block_q5_1Li32ETnPFvPKfPT0_EXadL_ZL23quantize_f32_q5_1_blockS2_PS0_EEEvS2_PKT_S4_llllllllllllll15HIP_vector_typeIjLj3EESC_SC_SC_SC_.num_vgpr, 52
	.set _ZL16k_set_rows_quantIi10block_q5_1Li32ETnPFvPKfPT0_EXadL_ZL23quantize_f32_q5_1_blockS2_PS0_EEEvS2_PKT_S4_llllllllllllll15HIP_vector_typeIjLj3EESC_SC_SC_SC_.num_agpr, 0
	.set _ZL16k_set_rows_quantIi10block_q5_1Li32ETnPFvPKfPT0_EXadL_ZL23quantize_f32_q5_1_blockS2_PS0_EEEvS2_PKT_S4_llllllllllllll15HIP_vector_typeIjLj3EESC_SC_SC_SC_.numbered_sgpr, 32
	.set _ZL16k_set_rows_quantIi10block_q5_1Li32ETnPFvPKfPT0_EXadL_ZL23quantize_f32_q5_1_blockS2_PS0_EEEvS2_PKT_S4_llllllllllllll15HIP_vector_typeIjLj3EESC_SC_SC_SC_.num_named_barrier, 0
	.set _ZL16k_set_rows_quantIi10block_q5_1Li32ETnPFvPKfPT0_EXadL_ZL23quantize_f32_q5_1_blockS2_PS0_EEEvS2_PKT_S4_llllllllllllll15HIP_vector_typeIjLj3EESC_SC_SC_SC_.private_seg_size, 0
	.set _ZL16k_set_rows_quantIi10block_q5_1Li32ETnPFvPKfPT0_EXadL_ZL23quantize_f32_q5_1_blockS2_PS0_EEEvS2_PKT_S4_llllllllllllll15HIP_vector_typeIjLj3EESC_SC_SC_SC_.uses_vcc, 1
	.set _ZL16k_set_rows_quantIi10block_q5_1Li32ETnPFvPKfPT0_EXadL_ZL23quantize_f32_q5_1_blockS2_PS0_EEEvS2_PKT_S4_llllllllllllll15HIP_vector_typeIjLj3EESC_SC_SC_SC_.uses_flat_scratch, 0
	.set _ZL16k_set_rows_quantIi10block_q5_1Li32ETnPFvPKfPT0_EXadL_ZL23quantize_f32_q5_1_blockS2_PS0_EEEvS2_PKT_S4_llllllllllllll15HIP_vector_typeIjLj3EESC_SC_SC_SC_.has_dyn_sized_stack, 0
	.set _ZL16k_set_rows_quantIi10block_q5_1Li32ETnPFvPKfPT0_EXadL_ZL23quantize_f32_q5_1_blockS2_PS0_EEEvS2_PKT_S4_llllllllllllll15HIP_vector_typeIjLj3EESC_SC_SC_SC_.has_recursion, 0
	.set _ZL16k_set_rows_quantIi10block_q5_1Li32ETnPFvPKfPT0_EXadL_ZL23quantize_f32_q5_1_blockS2_PS0_EEEvS2_PKT_S4_llllllllllllll15HIP_vector_typeIjLj3EESC_SC_SC_SC_.has_indirect_call, 0
	.section	.AMDGPU.csdata,"",@progbits
; Kernel info:
; codeLenInByte = 2536
; TotalNumSgprs: 34
; NumVgprs: 52
; ScratchSize: 0
; MemoryBound: 0
; FloatMode: 240
; IeeeMode: 1
; LDSByteSize: 0 bytes/workgroup (compile time only)
; SGPRBlocks: 0
; VGPRBlocks: 3
; NumSGPRsForWavesPerEU: 34
; NumVGPRsForWavesPerEU: 52
; NamedBarCnt: 0
; Occupancy: 16
; WaveLimiterHint : 1
; COMPUTE_PGM_RSRC2:SCRATCH_EN: 0
; COMPUTE_PGM_RSRC2:USER_SGPR: 2
; COMPUTE_PGM_RSRC2:TRAP_HANDLER: 0
; COMPUTE_PGM_RSRC2:TGID_X_EN: 1
; COMPUTE_PGM_RSRC2:TGID_Y_EN: 0
; COMPUTE_PGM_RSRC2:TGID_Z_EN: 0
; COMPUTE_PGM_RSRC2:TIDIG_COMP_CNT: 0
	.section	.text._ZL16k_set_rows_quantIi10block_q8_0Li32ETnPFvPKfPT0_EXadL_ZL23quantize_f32_q8_0_blockS2_PS0_EEEvS2_PKT_S4_llllllllllllll15HIP_vector_typeIjLj3EESC_SC_SC_SC_,"axG",@progbits,_ZL16k_set_rows_quantIi10block_q8_0Li32ETnPFvPKfPT0_EXadL_ZL23quantize_f32_q8_0_blockS2_PS0_EEEvS2_PKT_S4_llllllllllllll15HIP_vector_typeIjLj3EESC_SC_SC_SC_,comdat
	.globl	_ZL16k_set_rows_quantIi10block_q8_0Li32ETnPFvPKfPT0_EXadL_ZL23quantize_f32_q8_0_blockS2_PS0_EEEvS2_PKT_S4_llllllllllllll15HIP_vector_typeIjLj3EESC_SC_SC_SC_ ; -- Begin function _ZL16k_set_rows_quantIi10block_q8_0Li32ETnPFvPKfPT0_EXadL_ZL23quantize_f32_q8_0_blockS2_PS0_EEEvS2_PKT_S4_llllllllllllll15HIP_vector_typeIjLj3EESC_SC_SC_SC_
	.p2align	8
	.type	_ZL16k_set_rows_quantIi10block_q8_0Li32ETnPFvPKfPT0_EXadL_ZL23quantize_f32_q8_0_blockS2_PS0_EEEvS2_PKT_S4_llllllllllllll15HIP_vector_typeIjLj3EESC_SC_SC_SC_,@function
_ZL16k_set_rows_quantIi10block_q8_0Li32ETnPFvPKfPT0_EXadL_ZL23quantize_f32_q8_0_blockS2_PS0_EEEvS2_PKT_S4_llllllllllllll15HIP_vector_typeIjLj3EESC_SC_SC_SC_: ; @_ZL16k_set_rows_quantIi10block_q8_0Li32ETnPFvPKfPT0_EXadL_ZL23quantize_f32_q8_0_blockS2_PS0_EEEvS2_PKT_S4_llllllllllllll15HIP_vector_typeIjLj3EESC_SC_SC_SC_
; %bb.0:
	s_clause 0x1
	s_load_b32 s4, s[0:1], 0xd4
	s_load_b64 s[2:3], s[0:1], 0x18
	s_bfe_u32 s5, ttmp6, 0x4000c
	s_and_b32 s6, ttmp6, 15
	s_add_co_i32 s5, s5, 1
	s_getreg_b32 s7, hwreg(HW_REG_IB_STS2, 6, 4)
	s_mul_i32 s5, ttmp9, s5
	v_mov_b32_e32 v1, 0
	s_add_co_i32 s6, s6, s5
	s_wait_kmcnt 0x0
	s_and_b32 s4, s4, 0xffff
	s_cmp_eq_u32 s7, 0
	s_cselect_b32 s5, ttmp9, s6
	s_delay_alu instid0(SALU_CYCLE_1) | instskip(NEXT) | instid1(VALU_DEP_1)
	v_mad_nc_u64_u32 v[2:3], s4, s5, v[0:1]
	v_cmp_gt_i64_e32 vcc_lo, s[2:3], v[2:3]
	s_and_saveexec_b32 s2, vcc_lo
	s_cbranch_execz .LBB16_2
; %bb.1:
	s_load_b256 s[20:27], s[0:1], 0x88
	v_lshlrev_b32_e32 v0, 5, v2
	s_clause 0x1
	s_load_b128 s[28:31], s[0:1], 0xa8
	s_load_b512 s[4:19], s[0:1], 0x40
	v_dual_mov_b32 v7, v1 :: v_dual_mov_b32 v5, v1
	s_load_b64 s[2:3], s[0:1], 0x10
	s_wait_kmcnt 0x0
	v_mul_hi_u32 v2, s20, v0
	s_delay_alu instid0(VALU_DEP_1) | instskip(NEXT) | instid1(VALU_DEP_1)
	v_add_nc_u32_e32 v2, v0, v2
	v_lshrrev_b32_e32 v15, s21, v2
	s_delay_alu instid0(VALU_DEP_1) | instskip(NEXT) | instid1(VALU_DEP_1)
	v_mul_hi_u32 v2, v15, s23
	v_add_nc_u32_e32 v2, v15, v2
	s_delay_alu instid0(VALU_DEP_1) | instskip(NEXT) | instid1(VALU_DEP_1)
	v_lshrrev_b32_e32 v3, s24, v2
	v_mul_hi_u32 v2, v3, s26
	s_delay_alu instid0(VALU_DEP_1) | instskip(NEXT) | instid1(VALU_DEP_1)
	v_add_nc_u32_e32 v2, v3, v2
	v_lshrrev_b32_e32 v2, s27, v2
	v_mul_lo_u32 v4, v3, s25
	s_load_b96 s[24:26], s[0:1], 0xb8
	s_delay_alu instid0(VALU_DEP_2) | instskip(NEXT) | instid1(VALU_DEP_2)
	v_mul_lo_u32 v10, v2, s28
	v_sub_nc_u32_e32 v6, v15, v4
	s_delay_alu instid0(VALU_DEP_2) | instskip(NEXT) | instid1(VALU_DEP_2)
	v_dual_mov_b32 v3, v1 :: v_dual_sub_nc_u32 v4, v3, v10
	v_mul_u64_e32 v[8:9], s[4:5], v[6:7]
	v_mul_u64_e32 v[16:17], s[10:11], v[6:7]
	s_delay_alu instid0(VALU_DEP_3)
	v_mul_u64_e32 v[10:11], s[6:7], v[4:5]
	v_mul_hi_u32 v5, v4, s29
	v_mul_u64_e32 v[12:13], s[8:9], v[2:3]
	s_load_b128 s[4:7], s[0:1], 0x0
	s_wait_kmcnt 0x0
	v_mul_hi_u32 v14, v2, s24
	s_load_b64 s[0:1], s[0:1], 0x80
	s_delay_alu instid0(VALU_DEP_1) | instskip(NEXT) | instid1(VALU_DEP_1)
	v_dual_add_nc_u32 v3, v4, v5 :: v_dual_add_nc_u32 v5, v2, v14
	v_dual_lshrrev_b32 v3, s30, v3 :: v_dual_lshrrev_b32 v5, s25, v5
	s_delay_alu instid0(VALU_DEP_1) | instskip(SKIP_2) | instid1(VALU_DEP_4)
	v_mul_lo_u32 v14, v3, s31
	v_mul_lo_u32 v3, v15, s22
	v_mov_b32_e32 v15, v1
	v_mul_lo_u32 v5, v5, s26
	v_lshl_add_u64 v[8:9], v[8:9], 2, s[4:5]
	v_lshl_add_u64 v[22:23], v[16:17], 2, s[6:7]
	v_sub_nc_u32_e32 v14, v4, v14
	s_delay_alu instid0(VALU_DEP_3) | instskip(SKIP_2) | instid1(VALU_DEP_4)
	v_lshl_add_u64 v[6:7], v[10:11], 2, v[8:9]
	v_dual_mov_b32 v9, v1 :: v_dual_sub_nc_u32 v0, v0, v3
	v_sub_nc_u32_e32 v8, v2, v5
	v_mul_u64_e32 v[14:15], s[12:13], v[14:15]
	s_delay_alu instid0(VALU_DEP_4) | instskip(NEXT) | instid1(VALU_DEP_3)
	v_lshl_add_u64 v[6:7], v[12:13], 2, v[6:7]
	v_mul_u64_e32 v[20:21], s[14:15], v[8:9]
	s_delay_alu instid0(VALU_DEP_2)
	v_lshl_add_u64 v[40:41], v[0:1], 2, v[6:7]
	s_clause 0x2
	global_load_b128 v[6:9], v[40:41], off
	global_load_b128 v[10:13], v[40:41], off offset:16
	global_load_b128 v[16:19], v[40:41], off offset:32
	v_lshl_add_u64 v[14:15], v[14:15], 2, v[22:23]
	s_delay_alu instid0(VALU_DEP_1)
	v_lshl_add_u64 v[14:15], v[20:21], 2, v[14:15]
	global_load_b128 v[20:23], v[40:41], off offset:48
	global_load_b32 v42, v[14:15], off
	s_clause 0x3
	global_load_b128 v[24:27], v[40:41], off offset:64
	global_load_b128 v[28:31], v[40:41], off offset:80
	;; [unrolled: 1-line block ×4, first 2 shown]
	s_wait_loadcnt 0x8
	v_max3_num_f32 v3, |v6|, 0, |v7|
	s_delay_alu instid0(VALU_DEP_1) | instskip(SKIP_1) | instid1(VALU_DEP_1)
	v_max3_num_f32 v3, v3, |v8|, |v9|
	s_wait_loadcnt 0x7
	v_max3_num_f32 v3, v3, |v10|, |v11|
	s_delay_alu instid0(VALU_DEP_1) | instskip(SKIP_1) | instid1(VALU_DEP_1)
	v_max3_num_f32 v3, v3, |v12|, |v13|
	s_wait_loadcnt 0x6
	v_max3_num_f32 v3, v3, |v16|, |v17|
	s_delay_alu instid0(VALU_DEP_1) | instskip(SKIP_2) | instid1(VALU_DEP_2)
	v_max3_num_f32 v3, v3, |v18|, |v19|
	s_wait_loadcnt 0x4
	v_ashrrev_i32_e32 v43, 31, v42
	v_max3_num_f32 v3, v3, |v20|, |v21|
	s_delay_alu instid0(VALU_DEP_2) | instskip(NEXT) | instid1(VALU_DEP_2)
	v_mul_u64_e32 v[14:15], s[16:17], v[42:43]
	v_max3_num_f32 v3, v3, |v22|, |v23|
	s_wait_loadcnt 0x3
	s_delay_alu instid0(VALU_DEP_1) | instskip(NEXT) | instid1(VALU_DEP_1)
	v_max3_num_f32 v3, v3, |v24|, |v25|
	v_max3_num_f32 v3, v3, |v26|, |v27|
	s_wait_loadcnt 0x2
	s_delay_alu instid0(VALU_DEP_1) | instskip(NEXT) | instid1(VALU_DEP_1)
	v_max3_num_f32 v3, v3, |v28|, |v29|
	v_max3_num_f32 v3, v3, |v30|, |v31|
	s_wait_loadcnt 0x1
	s_delay_alu instid0(VALU_DEP_1) | instskip(SKIP_2) | instid1(VALU_DEP_2)
	v_max3_num_f32 v3, v3, |v32|, |v33|
	s_wait_kmcnt 0x0
	v_mad_nc_u64_u32 v[14:15], s0, v2, v[14:15]
	v_max3_num_f32 v3, v3, |v34|, |v35|
	s_wait_loadcnt 0x0
	s_delay_alu instid0(VALU_DEP_1) | instskip(NEXT) | instid1(VALU_DEP_1)
	v_max3_num_f32 v3, v3, |v36|, |v37|
	v_max3_num_f32 v40, v3, |v38|, |v39|
	s_delay_alu instid0(VALU_DEP_4) | instskip(SKIP_1) | instid1(VALU_DEP_2)
	v_mad_u32 v15, s1, v2, v15
	s_mov_b64 s[0:1], 0xf0f0f0f1
	v_div_scale_f32 v41, null, 0x42fe0000, 0x42fe0000, v40
	s_delay_alu instid0(VALU_DEP_1) | instskip(NEXT) | instid1(VALU_DEP_2)
	v_rcp_f32_e32 v42, v41
	v_mad_nc_u64_u32 v[2:3], s18, v4, v[14:15]
	v_div_scale_f32 v14, vcc_lo, v40, 0x42fe0000, v40
	s_delay_alu instid0(TRANS32_DEP_1) | instskip(NEXT) | instid1(VALU_DEP_1)
	v_fma_f32 v5, -v41, v42, 1.0
	v_fmac_f32_e32 v42, v5, v42
	s_delay_alu instid0(VALU_DEP_4) | instskip(NEXT) | instid1(VALU_DEP_2)
	v_mad_u32 v43, s19, v4, v3
	v_dual_mov_b32 v3, v1 :: v_dual_mul_f32 v15, v14, v42
	s_delay_alu instid0(VALU_DEP_1) | instskip(NEXT) | instid1(VALU_DEP_2)
	v_mul_u64_e32 v[4:5], s[0:1], v[2:3]
	v_fma_f32 v44, -v41, v15, v14
	s_delay_alu instid0(VALU_DEP_1) | instskip(NEXT) | instid1(VALU_DEP_1)
	v_fmac_f32_e32 v15, v44, v42
	v_fma_f32 v3, -v41, v15, v14
	s_delay_alu instid0(VALU_DEP_4) | instskip(NEXT) | instid1(VALU_DEP_2)
	v_mov_b32_e32 v14, v5
	v_div_fmas_f32 v3, v3, v42, v15
	v_mov_b32_e32 v15, v1
	s_delay_alu instid0(VALU_DEP_2) | instskip(NEXT) | instid1(VALU_DEP_2)
	v_div_fixup_f32 v41, v3, 0x42fe0000, v40
	v_mad_nc_u64_u32 v[4:5], 0xf0f0f0f1, v43, v[14:15]
	s_delay_alu instid0(VALU_DEP_2) | instskip(SKIP_1) | instid1(VALU_DEP_2)
	v_div_scale_f32 v40, null, v41, v41, 1.0
	v_div_scale_f32 v15, vcc_lo, 1.0, v41, 1.0
	v_rcp_f32_e32 v42, v40
	s_delay_alu instid0(VALU_DEP_3) | instskip(NEXT) | instid1(TRANS32_DEP_1)
	v_dual_mov_b32 v14, v5 :: v_dual_mov_b32 v5, v1
	v_fma_f32 v3, -v40, v42, 1.0
	s_delay_alu instid0(VALU_DEP_1) | instskip(NEXT) | instid1(VALU_DEP_1)
	v_fmac_f32_e32 v42, v3, v42
	v_mul_f32_e32 v44, v15, v42
	s_delay_alu instid0(VALU_DEP_1) | instskip(NEXT) | instid1(VALU_DEP_1)
	v_fma_f32 v3, -v40, v44, v15
	v_fmac_f32_e32 v44, v3, v42
	v_mad_nc_u64_u32 v[2:3], 0xf0f0f0f0, v2, v[4:5]
	s_delay_alu instid0(VALU_DEP_2) | instskip(NEXT) | instid1(VALU_DEP_1)
	v_dual_fma_f32 v2, -v40, v44, v15 :: v_dual_mov_b32 v15, v1
	v_div_fmas_f32 v2, v2, v42, v44
	v_cmp_neq_f32_e32 vcc_lo, 0, v41
	s_delay_alu instid0(VALU_DEP_2) | instskip(NEXT) | instid1(VALU_DEP_1)
	v_div_fixup_f32 v1, v2, v41, 1.0
	v_dual_mov_b32 v4, v3 :: v_dual_cndmask_b32 v40, 0, v1, vcc_lo
	s_delay_alu instid0(VALU_DEP_1) | instskip(SKIP_1) | instid1(VALU_DEP_3)
	v_add_nc_u64_e32 v[2:3], v[14:15], v[4:5]
	v_cvt_f16_f32_e32 v14, v41
	v_pk_mul_f32 v[50:51], v[8:9], v[40:41] op_sel_hi:[1,0]
	v_pk_mul_f32 v[46:47], v[12:13], v[40:41] op_sel_hi:[1,0]
	;; [unrolled: 1-line block ×5, first 2 shown]
	v_trunc_f32_e32 v26, v50
	v_trunc_f32_e32 v27, v51
	v_pk_mul_f32 v[6:7], v[28:29], v[40:41] op_sel_hi:[1,0]
	v_pk_mul_f32 v[44:45], v[10:11], v[40:41] op_sel_hi:[1,0]
	v_trunc_f32_e32 v28, v48
	s_delay_alu instid0(VALU_DEP_4) | instskip(SKIP_2) | instid1(VALU_DEP_4)
	v_dual_sub_f32 v68, v50, v26 :: v_dual_sub_f32 v69, v51, v27
	v_trunc_f32_e32 v29, v49
	v_pk_mul_f32 v[10:11], v[30:31], v[40:41] op_sel_hi:[1,0]
	v_sub_f32_e32 v70, v48, v28
	s_delay_alu instid0(VALU_DEP_4)
	v_cmp_ge_f32_e64 s0, |v68|, 0.5
	v_trunc_f32_e32 v30, v46
	v_sub_f32_e32 v71, v49, v29
	v_trunc_f32_e32 v31, v47
	v_pk_mul_f32 v[4:5], v[32:33], v[40:41] op_sel_hi:[1,0]
	v_cndmask_b32_e64 v68, 0, 1.0, s0
	v_cmp_ge_f32_e64 s0, |v69|, 0.5
	s_delay_alu instid0(VALU_DEP_4) | instskip(SKIP_2) | instid1(VALU_DEP_4)
	v_dual_sub_f32 v72, v46, v30 :: v_dual_sub_f32 v73, v47, v31
	v_trunc_f32_e32 v32, v44
	v_pk_mul_f32 v[18:19], v[18:19], v[40:41] op_sel_hi:[1,0]
	v_cndmask_b32_e64 v69, 0, 1.0, s0
	v_cmp_ge_f32_e64 s0, |v70|, 0.5
	v_trunc_f32_e32 v33, v45
	v_sub_f32_e32 v74, v44, v32
	v_pk_mul_f32 v[8:9], v[34:35], v[40:41] op_sel_hi:[1,0]
	v_trunc_f32_e32 v34, v18
	v_cndmask_b32_e64 v70, 0, 1.0, s0
	v_cmp_ge_f32_e64 s0, |v71|, 0.5
	v_sub_f32_e32 v75, v45, v33
	v_pk_mul_f32 v[16:17], v[16:17], v[40:41] op_sel_hi:[1,0]
	v_trunc_f32_e32 v35, v19
	v_bfi_b32 v50, 0x7fffffff, v68, v50
	v_cndmask_b32_e64 v71, 0, 1.0, s0
	v_cmp_ge_f32_e64 s0, |v72|, 0.5
	v_sub_f32_e32 v68, v18, v34
	v_mad_nc_u64_u32 v[42:43], 0xf0f0f0f0, v43, v[2:3]
	v_lshrrev_b32_e32 v15, 5, v0
	v_pk_mul_f32 v[0:1], v[36:37], v[40:41] op_sel_hi:[1,0]
	v_cndmask_b32_e64 v72, 0, 1.0, s0
	v_cmp_ge_f32_e64 s0, |v73|, 0.5
	v_trunc_f32_e32 v36, v16
	v_bfi_b32 v51, 0x7fffffff, v69, v51
	v_sub_f32_e32 v69, v19, v35
	v_pk_mul_f32 v[22:23], v[22:23], v[40:41] op_sel_hi:[1,0]
	v_cndmask_b32_e64 v73, 0, 1.0, s0
	v_cmp_ge_f32_e64 s0, |v74|, 0.5
	v_trunc_f32_e32 v37, v17
	v_bfi_b32 v48, 0x7fffffff, v70, v48
	v_sub_f32_e32 v70, v16, v36
	;; [unrolled: 6-line block ×4, first 2 shown]
	v_trunc_f32_e32 v40, v20
	v_cndmask_b32_e64 v68, 0, 1.0, s0
	v_cmp_ge_f32_e64 s0, |v69|, 0.5
	v_bfi_b32 v47, 0x7fffffff, v73, v47
	v_sub_f32_e32 v73, v23, v39
	v_trunc_f32_e32 v41, v21
	v_bfi_b32 v44, 0x7fffffff, v74, v44
	v_cndmask_b32_e64 v69, 0, 1.0, s0
	v_cmp_ge_f32_e64 s0, |v70|, 0.5
	v_sub_f32_e32 v74, v20, v40
	v_trunc_f32_e32 v52, v24
	v_bfi_b32 v45, 0x7fffffff, v75, v45
	v_sub_f32_e32 v75, v21, v41
	v_cndmask_b32_e64 v70, 0, 1.0, s0
	v_cmp_ge_f32_e64 s0, |v71|, 0.5
	v_trunc_f32_e32 v53, v25
	v_bfi_b32 v18, 0x7fffffff, v68, v18
	v_sub_f32_e32 v68, v24, v52
	v_trunc_f32_e32 v54, v12
	v_cndmask_b32_e64 v71, 0, 1.0, s0
	v_cmp_ge_f32_e64 s0, |v72|, 0.5
	v_bfi_b32 v19, 0x7fffffff, v69, v19
	v_sub_f32_e32 v69, v25, v53
	v_trunc_f32_e32 v55, v13
	v_bfi_b32 v16, 0x7fffffff, v70, v16
	v_cndmask_b32_e64 v72, 0, 1.0, s0
	v_cmp_ge_f32_e64 s0, |v73|, 0.5
	v_sub_f32_e32 v70, v12, v54
	v_trunc_f32_e32 v56, v10
	v_bfi_b32 v17, 0x7fffffff, v71, v17
	v_sub_f32_e32 v71, v13, v55
	v_cndmask_b32_e64 v73, 0, 1.0, s0
	v_cmp_ge_f32_e64 s0, |v74|, 0.5
	v_trunc_f32_e32 v57, v11
	v_bfi_b32 v22, 0x7fffffff, v72, v22
	v_sub_f32_e32 v72, v10, v56
	v_trunc_f32_e32 v58, v6
	v_cndmask_b32_e64 v74, 0, 1.0, s0
	v_cmp_ge_f32_e64 s0, |v75|, 0.5
	v_bfi_b32 v23, 0x7fffffff, v73, v23
	v_sub_f32_e32 v73, v11, v57
	v_trunc_f32_e32 v59, v7
	v_bfi_b32 v20, 0x7fffffff, v74, v20
	v_cndmask_b32_e64 v75, 0, 1.0, s0
	v_cmp_ge_f32_e64 s0, |v68|, 0.5
	v_sub_f32_e32 v74, v6, v58
	v_trunc_f32_e32 v60, v8
	v_trunc_f32_e32 v61, v9
	v_bfi_b32 v21, 0x7fffffff, v75, v21
	v_cndmask_b32_e64 v68, 0, 1.0, s0
	v_cmp_ge_f32_e64 s0, |v69|, 0.5
	v_sub_f32_e32 v75, v7, v59
	v_trunc_f32_e32 v62, v4
	;; [unrolled: 6-line block ×3, first 2 shown]
	v_alignbit_b32 v42, v43, v42, 5
	v_bfi_b32 v25, 0x7fffffff, v69, v25
	v_cndmask_b32_e64 v70, 0, 1.0, s0
	v_cmp_ge_f32_e64 s0, |v71|, 0.5
	v_sub_f32_e32 v69, v9, v61
	v_trunc_f32_e32 v65, v3
	v_trunc_f32_e32 v66, v0
	v_bfi_b32 v12, 0x7fffffff, v70, v12
	v_cndmask_b32_e64 v71, 0, 1.0, s0
	v_cmp_ge_f32_e64 s0, |v72|, 0.5
	v_sub_f32_e32 v70, v4, v62
	v_trunc_f32_e32 v67, v1
	v_sub_f32_e32 v76, v0, v66
	v_bfi_b32 v13, 0x7fffffff, v71, v13
	v_cndmask_b32_e64 v72, 0, 1.0, s0
	v_cmp_ge_f32_e64 s0, |v73|, 0.5
	v_sub_f32_e32 v71, v5, v63
	v_sub_f32_e32 v77, v1, v67
	v_lshrrev_b32_e32 v43, 5, v43
	v_bfi_b32 v10, 0x7fffffff, v72, v10
	v_cndmask_b32_e64 v73, 0, 1.0, s0
	v_cmp_ge_f32_e64 s0, |v74|, 0.5
	v_sub_f32_e32 v72, v2, v64
	v_dual_add_f32 v26, v26, v50 :: v_dual_add_f32 v27, v27, v51
	s_delay_alu instid0(VALU_DEP_4) | instskip(NEXT) | instid1(VALU_DEP_4)
	v_bfi_b32 v11, 0x7fffffff, v73, v11
	v_cndmask_b32_e64 v74, 0, 1.0, s0
	v_cmp_ge_f32_e64 s0, |v75|, 0.5
	v_dual_sub_f32 v73, v3, v65 :: v_dual_add_f32 v28, v28, v48
	v_add_f32_e32 v29, v29, v49
	s_delay_alu instid0(VALU_DEP_4) | instskip(NEXT) | instid1(VALU_DEP_4)
	v_bfi_b32 v74, 0x7fffffff, v74, v6
	v_cndmask_b32_e64 v75, 0, 1.0, s0
	v_cmp_ge_f32_e64 s0, |v68|, 0.5
	v_dual_add_f32 v30, v30, v46 :: v_dual_add_f32 v31, v31, v47
	v_dual_add_f32 v32, v32, v44 :: v_dual_add_f32 v33, v33, v45
	s_delay_alu instid0(VALU_DEP_3) | instskip(SKIP_4) | instid1(VALU_DEP_4)
	v_cndmask_b32_e64 v68, 0, 1.0, s0
	v_cmp_ge_f32_e64 s0, |v69|, 0.5
	v_bfi_b32 v75, 0x7fffffff, v75, v7
	v_mad_nc_u64_u32 v[6:7], v42, 34, s[2:3]
	v_dual_add_f32 v18, v34, v18 :: v_dual_add_f32 v19, v35, v19
	v_cndmask_b32_e64 v69, 0, 1.0, s0
	v_cmp_ge_f32_e64 s0, |v70|, 0.5
	v_bfi_b32 v8, 0x7fffffff, v68, v8
	v_dual_add_f32 v16, v36, v16 :: v_dual_add_f32 v17, v37, v17
	s_delay_alu instid0(VALU_DEP_4) | instskip(NEXT) | instid1(VALU_DEP_4)
	v_bfi_b32 v9, 0x7fffffff, v69, v9
	v_cndmask_b32_e64 v42, 0, 1.0, s0
	v_cmp_ge_f32_e64 s0, |v71|, 0.5
	v_mad_u32 v7, v43, 34, v7
	v_dual_add_f32 v22, v38, v22 :: v_dual_add_f32 v23, v39, v23
	s_delay_alu instid0(VALU_DEP_4) | instskip(NEXT) | instid1(VALU_DEP_4)
	v_bfi_b32 v4, 0x7fffffff, v42, v4
	v_cndmask_b32_e64 v68, 0, 1.0, s0
	v_cmp_ge_f32_e64 s0, |v72|, 0.5
	v_dual_add_f32 v20, v40, v20 :: v_dual_add_f32 v21, v41, v21
	v_dual_add_f32 v24, v52, v24 :: v_dual_add_f32 v25, v53, v25
	s_delay_alu instid0(VALU_DEP_3) | instskip(SKIP_3) | instid1(VALU_DEP_4)
	v_cndmask_b32_e64 v69, 0, 1.0, s0
	v_cmp_ge_f32_e64 s0, |v73|, 0.5
	v_bfi_b32 v5, 0x7fffffff, v68, v5
	v_dual_add_f32 v12, v54, v12 :: v_dual_add_f32 v13, v55, v13
	v_bfi_b32 v2, 0x7fffffff, v69, v2
	s_delay_alu instid0(VALU_DEP_4) | instskip(SKIP_3) | instid1(VALU_DEP_3)
	v_cndmask_b32_e64 v70, 0, 1.0, s0
	v_cmp_ge_f32_e64 s0, |v76|, 0.5
	v_dual_add_f32 v10, v56, v10 :: v_dual_add_f32 v11, v57, v11
	v_dual_add_f32 v34, v58, v74 :: v_dual_add_f32 v35, v59, v75
	v_cndmask_b32_e64 v71, 0, 1.0, s0
	v_cmp_ge_f32_e64 s0, |v77|, 0.5
	v_bfi_b32 v3, 0x7fffffff, v70, v3
	v_dual_add_f32 v8, v60, v8 :: v_dual_add_f32 v9, v61, v9
	s_delay_alu instid0(VALU_DEP_4) | instskip(NEXT) | instid1(VALU_DEP_4)
	v_bfi_b32 v0, 0x7fffffff, v71, v0
	v_cndmask_b32_e64 v72, 0, 1.0, s0
	v_dual_add_f32 v4, v62, v4 :: v_dual_add_f32 v5, v63, v5
	v_dual_add_f32 v2, v64, v2 :: v_dual_add_f32 v3, v65, v3
	s_delay_alu instid0(VALU_DEP_3)
	v_bfi_b32 v1, 0x7fffffff, v72, v1
	v_add_f32_e32 v0, v66, v0
	v_cvt_i32_f32_e32 v33, v33
	v_cvt_i32_f32_e32 v31, v31
	;; [unrolled: 1-line block ×3, first 2 shown]
	v_add_f32_e32 v1, v67, v1
	v_cvt_i32_f32_e32 v27, v27
	v_cvt_i32_f32_e32 v21, v21
	;; [unrolled: 1-line block ×22, first 2 shown]
	v_mad_nc_u64_u32 v[8:9], v15, 34, v[6:7]
	v_lshlrev_b16 v6, 8, v33
	v_lshlrev_b16 v7, 8, v31
	;; [unrolled: 1-line block ×8, first 2 shown]
	v_cvt_i32_f32_e32 v34, v34
	v_cvt_i32_f32_e32 v10, v10
	;; [unrolled: 1-line block ×7, first 2 shown]
	v_lshlrev_b16 v29, 8, v35
	v_lshlrev_b16 v11, 8, v11
	;; [unrolled: 1-line block ×8, first 2 shown]
	v_bitop3_b16 v6, v32, v6, 0xff bitop3:0xec
	v_bitop3_b16 v7, v30, v7, 0xff bitop3:0xec
	;; [unrolled: 1-line block ×16, first 2 shown]
	v_and_b32_e32 v4, 0xffff, v6
	v_dual_lshlrev_b32 v5, 16, v7 :: v_dual_lshlrev_b32 v7, 16, v26
	v_and_b32_e32 v6, 0xffff, v15
	v_and_b32_e32 v13, 0xffff, v20
	v_dual_lshlrev_b32 v15, 16, v21 :: v_dual_lshlrev_b32 v10, 16, v10
	v_and_b32_e32 v16, 0xffff, v16
	v_dual_lshlrev_b32 v17, 16, v17 :: v_dual_lshlrev_b32 v12, 16, v12
	v_and_b32_e32 v18, 0xffff, v18
	v_and_b32_e32 v11, 0xffff, v11
	;; [unrolled: 1-line block ×3, first 2 shown]
	v_dual_lshlrev_b32 v20, 16, v1 :: v_dual_lshlrev_b32 v22, 16, v3
	v_and_b32_e32 v21, 0xffff, v2
	v_or_b32_e32 v1, v4, v5
	v_or_b32_e32 v0, v6, v7
	;; [unrolled: 1-line block ×8, first 2 shown]
	s_clause 0x2
	global_store_b16 v[8:9], v14, off
	global_store_b128 v[8:9], v[0:3], off offset:2
	global_store_b128 v[8:9], v[4:7], off offset:18
.LBB16_2:
	s_sendmsg sendmsg(MSG_DEALLOC_VGPRS)
	s_endpgm
	.section	.rodata,"a",@progbits
	.p2align	6, 0x0
	.amdhsa_kernel _ZL16k_set_rows_quantIi10block_q8_0Li32ETnPFvPKfPT0_EXadL_ZL23quantize_f32_q8_0_blockS2_PS0_EEEvS2_PKT_S4_llllllllllllll15HIP_vector_typeIjLj3EESC_SC_SC_SC_
		.amdhsa_group_segment_fixed_size 0
		.amdhsa_private_segment_fixed_size 0
		.amdhsa_kernarg_size 456
		.amdhsa_user_sgpr_count 2
		.amdhsa_user_sgpr_dispatch_ptr 0
		.amdhsa_user_sgpr_queue_ptr 0
		.amdhsa_user_sgpr_kernarg_segment_ptr 1
		.amdhsa_user_sgpr_dispatch_id 0
		.amdhsa_user_sgpr_kernarg_preload_length 0
		.amdhsa_user_sgpr_kernarg_preload_offset 0
		.amdhsa_user_sgpr_private_segment_size 0
		.amdhsa_wavefront_size32 1
		.amdhsa_uses_dynamic_stack 0
		.amdhsa_enable_private_segment 0
		.amdhsa_system_sgpr_workgroup_id_x 1
		.amdhsa_system_sgpr_workgroup_id_y 0
		.amdhsa_system_sgpr_workgroup_id_z 0
		.amdhsa_system_sgpr_workgroup_info 0
		.amdhsa_system_vgpr_workitem_id 0
		.amdhsa_next_free_vgpr 78
		.amdhsa_next_free_sgpr 32
		.amdhsa_named_barrier_count 0
		.amdhsa_reserve_vcc 1
		.amdhsa_float_round_mode_32 0
		.amdhsa_float_round_mode_16_64 0
		.amdhsa_float_denorm_mode_32 3
		.amdhsa_float_denorm_mode_16_64 3
		.amdhsa_fp16_overflow 0
		.amdhsa_memory_ordered 1
		.amdhsa_forward_progress 1
		.amdhsa_inst_pref_size 26
		.amdhsa_round_robin_scheduling 0
		.amdhsa_exception_fp_ieee_invalid_op 0
		.amdhsa_exception_fp_denorm_src 0
		.amdhsa_exception_fp_ieee_div_zero 0
		.amdhsa_exception_fp_ieee_overflow 0
		.amdhsa_exception_fp_ieee_underflow 0
		.amdhsa_exception_fp_ieee_inexact 0
		.amdhsa_exception_int_div_zero 0
	.end_amdhsa_kernel
	.section	.text._ZL16k_set_rows_quantIi10block_q8_0Li32ETnPFvPKfPT0_EXadL_ZL23quantize_f32_q8_0_blockS2_PS0_EEEvS2_PKT_S4_llllllllllllll15HIP_vector_typeIjLj3EESC_SC_SC_SC_,"axG",@progbits,_ZL16k_set_rows_quantIi10block_q8_0Li32ETnPFvPKfPT0_EXadL_ZL23quantize_f32_q8_0_blockS2_PS0_EEEvS2_PKT_S4_llllllllllllll15HIP_vector_typeIjLj3EESC_SC_SC_SC_,comdat
.Lfunc_end16:
	.size	_ZL16k_set_rows_quantIi10block_q8_0Li32ETnPFvPKfPT0_EXadL_ZL23quantize_f32_q8_0_blockS2_PS0_EEEvS2_PKT_S4_llllllllllllll15HIP_vector_typeIjLj3EESC_SC_SC_SC_, .Lfunc_end16-_ZL16k_set_rows_quantIi10block_q8_0Li32ETnPFvPKfPT0_EXadL_ZL23quantize_f32_q8_0_blockS2_PS0_EEEvS2_PKT_S4_llllllllllllll15HIP_vector_typeIjLj3EESC_SC_SC_SC_
                                        ; -- End function
	.set _ZL16k_set_rows_quantIi10block_q8_0Li32ETnPFvPKfPT0_EXadL_ZL23quantize_f32_q8_0_blockS2_PS0_EEEvS2_PKT_S4_llllllllllllll15HIP_vector_typeIjLj3EESC_SC_SC_SC_.num_vgpr, 78
	.set _ZL16k_set_rows_quantIi10block_q8_0Li32ETnPFvPKfPT0_EXadL_ZL23quantize_f32_q8_0_blockS2_PS0_EEEvS2_PKT_S4_llllllllllllll15HIP_vector_typeIjLj3EESC_SC_SC_SC_.num_agpr, 0
	.set _ZL16k_set_rows_quantIi10block_q8_0Li32ETnPFvPKfPT0_EXadL_ZL23quantize_f32_q8_0_blockS2_PS0_EEEvS2_PKT_S4_llllllllllllll15HIP_vector_typeIjLj3EESC_SC_SC_SC_.numbered_sgpr, 32
	.set _ZL16k_set_rows_quantIi10block_q8_0Li32ETnPFvPKfPT0_EXadL_ZL23quantize_f32_q8_0_blockS2_PS0_EEEvS2_PKT_S4_llllllllllllll15HIP_vector_typeIjLj3EESC_SC_SC_SC_.num_named_barrier, 0
	.set _ZL16k_set_rows_quantIi10block_q8_0Li32ETnPFvPKfPT0_EXadL_ZL23quantize_f32_q8_0_blockS2_PS0_EEEvS2_PKT_S4_llllllllllllll15HIP_vector_typeIjLj3EESC_SC_SC_SC_.private_seg_size, 0
	.set _ZL16k_set_rows_quantIi10block_q8_0Li32ETnPFvPKfPT0_EXadL_ZL23quantize_f32_q8_0_blockS2_PS0_EEEvS2_PKT_S4_llllllllllllll15HIP_vector_typeIjLj3EESC_SC_SC_SC_.uses_vcc, 1
	.set _ZL16k_set_rows_quantIi10block_q8_0Li32ETnPFvPKfPT0_EXadL_ZL23quantize_f32_q8_0_blockS2_PS0_EEEvS2_PKT_S4_llllllllllllll15HIP_vector_typeIjLj3EESC_SC_SC_SC_.uses_flat_scratch, 0
	.set _ZL16k_set_rows_quantIi10block_q8_0Li32ETnPFvPKfPT0_EXadL_ZL23quantize_f32_q8_0_blockS2_PS0_EEEvS2_PKT_S4_llllllllllllll15HIP_vector_typeIjLj3EESC_SC_SC_SC_.has_dyn_sized_stack, 0
	.set _ZL16k_set_rows_quantIi10block_q8_0Li32ETnPFvPKfPT0_EXadL_ZL23quantize_f32_q8_0_blockS2_PS0_EEEvS2_PKT_S4_llllllllllllll15HIP_vector_typeIjLj3EESC_SC_SC_SC_.has_recursion, 0
	.set _ZL16k_set_rows_quantIi10block_q8_0Li32ETnPFvPKfPT0_EXadL_ZL23quantize_f32_q8_0_blockS2_PS0_EEEvS2_PKT_S4_llllllllllllll15HIP_vector_typeIjLj3EESC_SC_SC_SC_.has_indirect_call, 0
	.section	.AMDGPU.csdata,"",@progbits
; Kernel info:
; codeLenInByte = 3276
; TotalNumSgprs: 34
; NumVgprs: 78
; ScratchSize: 0
; MemoryBound: 0
; FloatMode: 240
; IeeeMode: 1
; LDSByteSize: 0 bytes/workgroup (compile time only)
; SGPRBlocks: 0
; VGPRBlocks: 4
; NumSGPRsForWavesPerEU: 34
; NumVGPRsForWavesPerEU: 78
; NamedBarCnt: 0
; Occupancy: 12
; WaveLimiterHint : 1
; COMPUTE_PGM_RSRC2:SCRATCH_EN: 0
; COMPUTE_PGM_RSRC2:USER_SGPR: 2
; COMPUTE_PGM_RSRC2:TRAP_HANDLER: 0
; COMPUTE_PGM_RSRC2:TGID_X_EN: 1
; COMPUTE_PGM_RSRC2:TGID_Y_EN: 0
; COMPUTE_PGM_RSRC2:TGID_Z_EN: 0
; COMPUTE_PGM_RSRC2:TIDIG_COMP_CNT: 0
	.section	.text._ZL16k_set_rows_quantIi12block_iq4_nlLi32ETnPFvPKfPT0_EXadL_ZL25quantize_f32_iq4_nl_blockS2_PS0_EEEvS2_PKT_S4_llllllllllllll15HIP_vector_typeIjLj3EESC_SC_SC_SC_,"axG",@progbits,_ZL16k_set_rows_quantIi12block_iq4_nlLi32ETnPFvPKfPT0_EXadL_ZL25quantize_f32_iq4_nl_blockS2_PS0_EEEvS2_PKT_S4_llllllllllllll15HIP_vector_typeIjLj3EESC_SC_SC_SC_,comdat
	.globl	_ZL16k_set_rows_quantIi12block_iq4_nlLi32ETnPFvPKfPT0_EXadL_ZL25quantize_f32_iq4_nl_blockS2_PS0_EEEvS2_PKT_S4_llllllllllllll15HIP_vector_typeIjLj3EESC_SC_SC_SC_ ; -- Begin function _ZL16k_set_rows_quantIi12block_iq4_nlLi32ETnPFvPKfPT0_EXadL_ZL25quantize_f32_iq4_nl_blockS2_PS0_EEEvS2_PKT_S4_llllllllllllll15HIP_vector_typeIjLj3EESC_SC_SC_SC_
	.p2align	8
	.type	_ZL16k_set_rows_quantIi12block_iq4_nlLi32ETnPFvPKfPT0_EXadL_ZL25quantize_f32_iq4_nl_blockS2_PS0_EEEvS2_PKT_S4_llllllllllllll15HIP_vector_typeIjLj3EESC_SC_SC_SC_,@function
_ZL16k_set_rows_quantIi12block_iq4_nlLi32ETnPFvPKfPT0_EXadL_ZL25quantize_f32_iq4_nl_blockS2_PS0_EEEvS2_PKT_S4_llllllllllllll15HIP_vector_typeIjLj3EESC_SC_SC_SC_: ; @_ZL16k_set_rows_quantIi12block_iq4_nlLi32ETnPFvPKfPT0_EXadL_ZL25quantize_f32_iq4_nl_blockS2_PS0_EEEvS2_PKT_S4_llllllllllllll15HIP_vector_typeIjLj3EESC_SC_SC_SC_
; %bb.0:
	s_clause 0x1
	s_load_b32 s4, s[0:1], 0xd4
	s_load_b64 s[2:3], s[0:1], 0x18
	s_bfe_u32 s5, ttmp6, 0x4000c
	v_mov_b32_e32 v2, 0
	s_add_co_i32 s5, s5, 1
	s_and_b32 s6, ttmp6, 15
	s_mul_i32 s5, ttmp9, s5
	s_getreg_b32 s7, hwreg(HW_REG_IB_STS2, 6, 4)
	v_mov_b32_e32 v1, v2
	s_add_co_i32 s6, s6, s5
	s_wait_kmcnt 0x0
	s_and_b32 s4, s4, 0xffff
	s_cmp_eq_u32 s7, 0
	s_cselect_b32 s5, ttmp9, s6
	s_delay_alu instid0(SALU_CYCLE_1) | instskip(NEXT) | instid1(VALU_DEP_1)
	v_mad_nc_u64_u32 v[0:1], s4, s5, v[0:1]
	v_cmp_gt_i64_e32 vcc_lo, s[2:3], v[0:1]
	s_mov_b32 s3, 0
	s_and_saveexec_b32 s2, vcc_lo
	s_cbranch_execz .LBB17_16
; %bb.1:
	s_load_b256 s[20:27], s[0:1], 0x88
	v_lshlrev_b32_e32 v3, 5, v0
	s_clause 0x1
	s_load_b128 s[28:31], s[0:1], 0xa8
	s_load_b512 s[4:19], s[0:1], 0x40
	v_dual_mov_b32 v33, v2 :: v_dual_mov_b32 v35, v2
	s_mov_b32 s2, s3
	v_dual_mov_b32 v11, v2 :: v_dual_mov_b32 v7, v2
	v_mov_b32_e32 v9, v2
	s_wait_kmcnt 0x0
	v_mul_hi_u32 v0, s20, v3
	s_delay_alu instid0(VALU_DEP_1) | instskip(NEXT) | instid1(VALU_DEP_1)
	v_add_nc_u32_e32 v0, v3, v0
	v_lshrrev_b32_e32 v14, s21, v0
	s_delay_alu instid0(VALU_DEP_1) | instskip(NEXT) | instid1(VALU_DEP_1)
	v_mul_hi_u32 v0, v14, s23
	v_add_nc_u32_e32 v0, v14, v0
	s_delay_alu instid0(VALU_DEP_1) | instskip(NEXT) | instid1(VALU_DEP_1)
	v_lshrrev_b32_e32 v4, s24, v0
	v_mul_hi_u32 v0, v4, s26
	s_delay_alu instid0(VALU_DEP_1) | instskip(NEXT) | instid1(VALU_DEP_1)
	v_add_nc_u32_e32 v0, v4, v0
	v_lshrrev_b32_e32 v8, s27, v0
	v_mul_lo_u32 v1, v4, s25
	s_delay_alu instid0(VALU_DEP_2) | instskip(SKIP_2) | instid1(VALU_DEP_3)
	v_mul_lo_u32 v5, v8, s28
	v_mul_u64_e32 v[12:13], s[8:9], v[8:9]
	s_load_b64 s[8:9], s[0:1], 0x10
	v_sub_nc_u32_e32 v10, v14, v1
	s_delay_alu instid0(VALU_DEP_3) | instskip(NEXT) | instid1(VALU_DEP_2)
	v_sub_nc_u32_e32 v6, v4, v5
	v_mul_u64_e32 v[0:1], s[4:5], v[10:11]
	v_mul_u64_e32 v[10:11], s[10:11], v[10:11]
	s_delay_alu instid0(VALU_DEP_3) | instskip(SKIP_4) | instid1(VALU_DEP_4)
	v_mul_u64_e32 v[4:5], s[6:7], v[6:7]
	s_load_b128 s[4:7], s[0:1], 0x0
	v_mul_lo_u32 v7, v14, s22
	s_load_b96 s[20:22], s[0:1], 0xb8
	s_wait_kmcnt 0x0
	v_lshl_add_u64 v[0:1], v[0:1], 2, s[4:5]
	s_delay_alu instid0(VALU_DEP_4) | instskip(SKIP_1) | instid1(VALU_DEP_2)
	v_lshl_add_u64 v[10:11], v[10:11], 2, s[6:7]
	s_load_b64 s[0:1], s[0:1], 0x80
	v_lshl_add_u64 v[0:1], v[4:5], 2, v[0:1]
	s_delay_alu instid0(VALU_DEP_4) | instskip(SKIP_1) | instid1(VALU_DEP_3)
	v_dual_mov_b32 v5, v2 :: v_dual_sub_nc_u32 v4, v3, v7
	v_mul_hi_u32 v3, v6, s29
	v_lshl_add_u64 v[0:1], v[12:13], 2, v[0:1]
	s_delay_alu instid0(VALU_DEP_1)
	v_lshl_add_u64 v[0:1], v[4:5], 2, v[0:1]
	v_mul_hi_u32 v5, v8, s20
	s_clause 0x3
	global_load_b128 v[12:15], v[0:1], off
	global_load_b128 v[16:19], v[0:1], off offset:16
	global_load_b128 v[20:23], v[0:1], off offset:32
	;; [unrolled: 1-line block ×3, first 2 shown]
	v_add_nc_u32_e32 v3, v6, v3
	global_load_b128 v[28:31], v[0:1], off offset:64
	v_dual_lshrrev_b32 v4, 5, v4 :: v_dual_add_nc_u32 v5, v8, v5
	s_delay_alu instid0(VALU_DEP_1) | instskip(NEXT) | instid1(VALU_DEP_1)
	v_dual_lshrrev_b32 v3, s30, v3 :: v_dual_lshrrev_b32 v5, s21, v5
	v_mul_lo_u32 v3, v3, s31
	s_delay_alu instid0(VALU_DEP_2) | instskip(NEXT) | instid1(VALU_DEP_1)
	v_mul_lo_u32 v5, v5, s22
	v_dual_sub_nc_u32 v32, v6, v3 :: v_dual_sub_nc_u32 v34, v8, v5
	s_delay_alu instid0(VALU_DEP_1) | instskip(NEXT) | instid1(VALU_DEP_2)
	v_mul_u64_e32 v[36:37], s[12:13], v[32:33]
	v_mul_u64_e32 v[38:39], s[14:15], v[34:35]
	global_load_b128 v[32:35], v[0:1], off offset:80
	v_lshl_add_u64 v[10:11], v[36:37], 2, v[10:11]
	s_delay_alu instid0(VALU_DEP_1)
	v_lshl_add_u64 v[10:11], v[38:39], 2, v[10:11]
	global_load_b32 v44, v[10:11], off
	s_clause 0x1
	global_load_b128 v[36:39], v[0:1], off offset:96
	global_load_b128 v[40:43], v[0:1], off offset:112
	s_wait_loadcnt 0x8
	v_cmp_lg_f32_e32 vcc_lo, 0, v12
	v_cndmask_b32_e64 v5, 0, |v12|, vcc_lo
	v_cndmask_b32_e32 v3, 0, v12, vcc_lo
	s_delay_alu instid0(VALU_DEP_2) | instskip(NEXT) | instid1(VALU_DEP_2)
	v_cmp_lt_f32_e64 vcc_lo, v5, |v13|
	v_cndmask_b32_e32 v3, v3, v13, vcc_lo
	s_delay_alu instid0(VALU_DEP_2) | instskip(NEXT) | instid1(VALU_DEP_1)
	v_cndmask_b32_e64 v5, v5, |v13|, vcc_lo
	v_cmp_lt_f32_e64 vcc_lo, v5, |v14|
	s_delay_alu instid0(VALU_DEP_1) | instskip(SKIP_2) | instid1(VALU_DEP_2)
	v_cndmask_b32_e64 v5, v5, |v14|, vcc_lo
	s_wait_loadcnt 0x2
	v_dual_ashrrev_i32 v45, 31, v44 :: v_dual_cndmask_b32 v3, v3, v14, vcc_lo
	v_cmp_lt_f32_e64 vcc_lo, v5, |v15|
	s_delay_alu instid0(VALU_DEP_2) | instskip(NEXT) | instid1(VALU_DEP_2)
	v_mul_u64_e32 v[10:11], s[16:17], v[44:45]
	v_cndmask_b32_e64 v5, v5, |v15|, vcc_lo
	s_wait_kmcnt 0x0
	s_delay_alu instid0(VALU_DEP_2) | instskip(NEXT) | instid1(VALU_DEP_1)
	v_mad_nc_u64_u32 v[10:11], s0, v8, v[10:11]
	v_mad_u32 v11, s1, v8, v11
	s_mov_b64 s[0:1], 0x8e38e38f
	s_delay_alu instid0(VALU_DEP_1) | instskip(SKIP_2) | instid1(VALU_DEP_1)
	v_mad_nc_u64_u32 v[8:9], s18, v6, v[10:11]
	v_dual_mov_b32 v11, v2 :: v_dual_cndmask_b32 v3, v3, v15, vcc_lo
	v_cmp_lt_f32_e64 vcc_lo, v5, |v16|
	v_cndmask_b32_e64 v5, v5, |v16|, vcc_lo
	s_delay_alu instid0(VALU_DEP_3) | instskip(SKIP_2) | instid1(VALU_DEP_4)
	v_cndmask_b32_e32 v3, v3, v16, vcc_lo
	v_mad_u32 v13, s19, v6, v9
	v_mov_b32_e32 v9, v2
	v_cmp_lt_f32_e64 vcc_lo, v5, |v17|
	s_delay_alu instid0(VALU_DEP_2) | instskip(NEXT) | instid1(VALU_DEP_2)
	v_mul_u64_e32 v[6:7], s[0:1], v[8:9]
	v_cndmask_b32_e64 v5, v5, |v17|, vcc_lo
	v_cndmask_b32_e32 v3, v3, v17, vcc_lo
	s_get_pc_i64 s[0:1]
	s_add_nc_u64 s[0:1], s[0:1], _ZL13kvalues_iq4nl@rel64+4
	s_delay_alu instid0(VALU_DEP_2) | instskip(NEXT) | instid1(VALU_DEP_1)
	v_cmp_lt_f32_e64 vcc_lo, v5, |v18|
	v_cndmask_b32_e64 v5, v5, |v18|, vcc_lo
	v_cndmask_b32_e32 v3, v3, v18, vcc_lo
	s_delay_alu instid0(VALU_DEP_2) | instskip(NEXT) | instid1(VALU_DEP_1)
	v_cmp_lt_f32_e64 vcc_lo, v5, |v19|
	v_cndmask_b32_e64 v5, v5, |v19|, vcc_lo
	s_delay_alu instid0(VALU_DEP_3) | instskip(NEXT) | instid1(VALU_DEP_2)
	v_cndmask_b32_e32 v3, v3, v19, vcc_lo
	v_cmp_lt_f32_e64 vcc_lo, v5, |v20|
	s_delay_alu instid0(VALU_DEP_1) | instskip(NEXT) | instid1(VALU_DEP_3)
	v_cndmask_b32_e64 v5, v5, |v20|, vcc_lo
	v_cndmask_b32_e32 v3, v3, v20, vcc_lo
	v_mov_b32_e32 v10, v7
	s_delay_alu instid0(VALU_DEP_3) | instskip(NEXT) | instid1(VALU_DEP_1)
	v_cmp_lt_f32_e64 vcc_lo, v5, |v21|
	v_cndmask_b32_e64 v5, v5, |v21|, vcc_lo
	s_delay_alu instid0(VALU_DEP_4) | instskip(NEXT) | instid1(VALU_DEP_2)
	v_cndmask_b32_e32 v3, v3, v21, vcc_lo
	v_cmp_lt_f32_e64 vcc_lo, v5, |v22|
	s_delay_alu instid0(VALU_DEP_1) | instskip(NEXT) | instid1(VALU_DEP_3)
	v_cndmask_b32_e64 v5, v5, |v22|, vcc_lo
	v_cndmask_b32_e32 v3, v3, v22, vcc_lo
	s_delay_alu instid0(VALU_DEP_2) | instskip(NEXT) | instid1(VALU_DEP_1)
	v_cmp_lt_f32_e64 vcc_lo, v5, |v23|
	v_cndmask_b32_e64 v5, v5, |v23|, vcc_lo
	s_delay_alu instid0(VALU_DEP_3) | instskip(NEXT) | instid1(VALU_DEP_2)
	v_cndmask_b32_e32 v3, v3, v23, vcc_lo
	v_cmp_lt_f32_e64 vcc_lo, v5, |v24|
	s_delay_alu instid0(VALU_DEP_1) | instskip(NEXT) | instid1(VALU_DEP_3)
	v_cndmask_b32_e64 v5, v5, |v24|, vcc_lo
	v_cndmask_b32_e32 v3, v3, v24, vcc_lo
	s_delay_alu instid0(VALU_DEP_2) | instskip(NEXT) | instid1(VALU_DEP_1)
	v_cmp_lt_f32_e64 vcc_lo, v5, |v25|
	v_cndmask_b32_e64 v5, v5, |v25|, vcc_lo
	s_delay_alu instid0(VALU_DEP_3) | instskip(NEXT) | instid1(VALU_DEP_2)
	;; [unrolled: 9-line block ×6, first 2 shown]
	v_cndmask_b32_e32 v3, v3, v33, vcc_lo
	v_cmp_lt_f32_e64 vcc_lo, v5, |v34|
	s_delay_alu instid0(VALU_DEP_1) | instskip(NEXT) | instid1(VALU_DEP_3)
	v_cndmask_b32_e64 v5, v5, |v34|, vcc_lo
	v_cndmask_b32_e32 v3, v3, v34, vcc_lo
	s_delay_alu instid0(VALU_DEP_2) | instskip(NEXT) | instid1(VALU_DEP_1)
	v_cmp_lt_f32_e64 vcc_lo, v5, |v35|
	v_cndmask_b32_e64 v5, v5, |v35|, vcc_lo
	s_delay_alu instid0(VALU_DEP_3) | instskip(SKIP_1) | instid1(VALU_DEP_2)
	v_cndmask_b32_e32 v3, v3, v35, vcc_lo
	s_wait_loadcnt 0x1
	v_cmp_lt_f32_e64 vcc_lo, v5, |v36|
	s_delay_alu instid0(VALU_DEP_1) | instskip(NEXT) | instid1(VALU_DEP_3)
	v_cndmask_b32_e64 v5, v5, |v36|, vcc_lo
	v_cndmask_b32_e32 v3, v3, v36, vcc_lo
	s_delay_alu instid0(VALU_DEP_2) | instskip(NEXT) | instid1(VALU_DEP_1)
	v_cmp_lt_f32_e64 vcc_lo, v5, |v37|
	v_cndmask_b32_e64 v5, v5, |v37|, vcc_lo
	s_delay_alu instid0(VALU_DEP_3) | instskip(NEXT) | instid1(VALU_DEP_2)
	v_cndmask_b32_e32 v3, v3, v37, vcc_lo
	v_cmp_lt_f32_e64 vcc_lo, v5, |v38|
	s_delay_alu instid0(VALU_DEP_1) | instskip(NEXT) | instid1(VALU_DEP_3)
	v_cndmask_b32_e64 v5, v5, |v38|, vcc_lo
	v_cndmask_b32_e32 v3, v3, v38, vcc_lo
	s_delay_alu instid0(VALU_DEP_2) | instskip(NEXT) | instid1(VALU_DEP_1)
	v_cmp_lt_f32_e64 vcc_lo, v5, |v39|
	v_cndmask_b32_e64 v5, v5, |v39|, vcc_lo
	s_delay_alu instid0(VALU_DEP_3) | instskip(SKIP_1) | instid1(VALU_DEP_2)
	v_cndmask_b32_e32 v3, v3, v39, vcc_lo
	s_wait_loadcnt 0x0
	v_cmp_lt_f32_e64 vcc_lo, v5, |v40|
	s_delay_alu instid0(VALU_DEP_1) | instskip(NEXT) | instid1(VALU_DEP_3)
	v_cndmask_b32_e64 v5, v5, |v40|, vcc_lo
	v_cndmask_b32_e32 v3, v3, v40, vcc_lo
	s_delay_alu instid0(VALU_DEP_2) | instskip(NEXT) | instid1(VALU_DEP_1)
	v_cmp_lt_f32_e64 vcc_lo, v5, |v41|
	v_cndmask_b32_e64 v5, v5, |v41|, vcc_lo
	s_delay_alu instid0(VALU_DEP_3) | instskip(NEXT) | instid1(VALU_DEP_2)
	v_cndmask_b32_e32 v3, v3, v41, vcc_lo
	v_cmp_lt_f32_e64 vcc_lo, v5, |v42|
	s_delay_alu instid0(VALU_DEP_1) | instskip(NEXT) | instid1(VALU_DEP_3)
	v_cndmask_b32_e64 v5, v5, |v42|, vcc_lo
	v_cndmask_b32_e32 v3, v3, v42, vcc_lo
	s_delay_alu instid0(VALU_DEP_2) | instskip(NEXT) | instid1(VALU_DEP_2)
	v_cmp_lt_f32_e64 vcc_lo, v5, |v43|
	v_cndmask_b32_e32 v3, v3, v43, vcc_lo
	s_delay_alu instid0(VALU_DEP_1) | instskip(SKIP_1) | instid1(VALU_DEP_2)
	v_div_scale_f32 v5, null, 0xc2fe0000, 0xc2fe0000, v3
	v_div_scale_f32 v12, vcc_lo, v3, 0xc2fe0000, v3
	v_rcp_f32_e32 v9, v5
	v_nop
	s_delay_alu instid0(TRANS32_DEP_1) | instskip(NEXT) | instid1(VALU_DEP_1)
	v_fma_f32 v6, -v5, v9, 1.0
	v_fmac_f32_e32 v9, v6, v9
	v_mad_nc_u64_u32 v[6:7], 0x8e38e38f, v13, v[10:11]
	s_delay_alu instid0(VALU_DEP_2) | instskip(NEXT) | instid1(VALU_DEP_1)
	v_mul_f32_e32 v11, v12, v9
	v_dual_fma_f32 v14, -v5, v11, v12 :: v_dual_mov_b32 v10, v7
	v_mov_b32_e32 v7, v2
	s_delay_alu instid0(VALU_DEP_2) | instskip(NEXT) | instid1(VALU_DEP_2)
	v_fmac_f32_e32 v11, v14, v9
	v_mad_nc_u64_u32 v[6:7], 0xe38e38e3, v8, v[6:7]
	s_delay_alu instid0(VALU_DEP_2) | instskip(NEXT) | instid1(VALU_DEP_1)
	v_fma_f32 v5, -v5, v11, v12
	v_div_fmas_f32 v5, v5, v9, v11
	v_dual_mov_b32 v11, v2 :: v_dual_mov_b32 v9, v2
	s_delay_alu instid0(VALU_DEP_4) | instskip(NEXT) | instid1(VALU_DEP_3)
	v_mov_b32_e32 v8, v7
	v_div_fixup_f32 v12, v5, 0xc2fe0000, v3
	s_delay_alu instid0(VALU_DEP_2) | instskip(NEXT) | instid1(VALU_DEP_2)
	v_add_nc_u64_e32 v[6:7], v[10:11], v[8:9]
	v_div_scale_f32 v3, null, v12, v12, 1.0
	v_div_scale_f32 v10, vcc_lo, 1.0, v12, 1.0
	s_delay_alu instid0(VALU_DEP_2) | instskip(NEXT) | instid1(VALU_DEP_3)
	v_rcp_f32_e32 v5, v3
	v_mad_nc_u64_u32 v[6:7], 0xe38e38e3, v13, v[6:7]
	s_delay_alu instid0(TRANS32_DEP_1) | instskip(NEXT) | instid1(VALU_DEP_1)
	v_fma_f32 v8, -v3, v5, 1.0
	v_fmac_f32_e32 v5, v8, v5
	s_delay_alu instid0(VALU_DEP_3) | instskip(NEXT) | instid1(VALU_DEP_2)
	v_alignbit_b32 v6, v7, v6, 4
	v_dual_lshrrev_b32 v7, 4, v7 :: v_dual_mul_f32 v11, v10, v5
	s_delay_alu instid0(VALU_DEP_2) | instskip(NEXT) | instid1(VALU_DEP_2)
	v_mad_nc_u64_u32 v[8:9], v6, 18, s[8:9]
	v_fma_f32 v6, -v3, v11, v10
	s_delay_alu instid0(VALU_DEP_1) | instskip(NEXT) | instid1(VALU_DEP_3)
	v_fmac_f32_e32 v11, v6, v5
	v_mad_u32 v9, v7, 18, v9
	s_delay_alu instid0(VALU_DEP_2) | instskip(NEXT) | instid1(VALU_DEP_1)
	v_fma_f32 v3, -v3, v11, v10
	v_div_fmas_f32 v3, v3, v5, v11
	v_cmp_neq_f32_e32 vcc_lo, 0, v12
	s_delay_alu instid0(VALU_DEP_4) | instskip(NEXT) | instid1(VALU_DEP_3)
	v_mad_nc_u64_u32 v[4:5], v4, 18, v[8:9]
	v_div_fixup_f32 v3, v3, v12, 1.0
	s_delay_alu instid0(VALU_DEP_1)
	v_dual_cndmask_b32 v13, 0, v3, vcc_lo :: v_dual_mov_b32 v3, v2
	s_branch .LBB17_4
.LBB17_2:                               ;   in Loop: Header=BB17_4 Depth=1
	s_or_b32 exec_lo, exec_lo, s5
.LBB17_3:                               ;   in Loop: Header=BB17_4 Depth=1
	s_delay_alu instid0(SALU_CYCLE_1) | instskip(NEXT) | instid1(VALU_DEP_1)
	s_or_b32 exec_lo, exec_lo, s4
	v_and_b32_e32 v8, 0xff, v14
	v_and_b32_e32 v9, 0xff, v15
	s_clause 0x1
	global_load_i8 v10, v8, s[0:1]
	global_load_i8 v16, v9, s[0:1]
	s_wait_xcnt 0x0
	v_pk_mul_f32 v[8:9], v[6:7], v[6:7]
	s_wait_loadcnt 0x1
	v_cvt_f32_i32_e32 v11, v10
	s_wait_loadcnt 0x0
	v_cvt_f32_i32_e32 v10, v16
	s_delay_alu instid0(VALU_DEP_2) | instskip(NEXT) | instid1(VALU_DEP_2)
	v_dual_mov_b32 v17, v6 :: v_dual_mov_b32 v16, v11
	v_pk_mul_f32 v[8:9], v[8:9], v[10:11]
	v_mov_b32_e32 v11, v7
	s_delay_alu instid0(VALU_DEP_2) | instskip(NEXT) | instid1(VALU_DEP_1)
	v_pk_mul_f32 v[6:7], v[16:17], v[8:9] op_sel:[0,1] op_sel_hi:[1,0]
	v_pk_fma_f32 v[6:7], v[10:11], v[8:9], v[6:7]
	v_add_nc_u64_e32 v[8:9], s[2:3], v[4:5]
	v_lshl_or_b32 v10, v14, 4, v15
	s_add_co_i32 s2, s2, 1
	s_delay_alu instid0(SALU_CYCLE_1)
	s_cmp_lg_u32 s2, 16
	v_pk_add_f32 v[2:3], v[2:3], v[6:7]
	global_store_b8 v[8:9], v10, off offset:2
	s_cbranch_scc0 .LBB17_15
.LBB17_4:                               ; =>This Loop Header: Depth=1
                                        ;     Child Loop BB17_7 Depth 2
                                        ;     Child Loop BB17_13 Depth 2
	s_wait_xcnt 0x0
	v_lshl_add_u64 v[8:9], s[2:3], 2, v[0:1]
	v_mov_b32_e32 v15, 0
	s_mov_b32 s4, exec_lo
	s_clause 0x1
	global_load_b32 v6, v[8:9], off
	global_load_b32 v7, v[8:9], off offset:64
	s_wait_loadcnt 0x1
	s_wait_xcnt 0x0
	v_dual_mov_b32 v14, 0 :: v_dual_mul_f32 v8, v13, v6
	s_delay_alu instid0(VALU_DEP_1)
	v_cmpx_nge_f32_e32 0xc2fe0000, v8
	s_cbranch_execz .LBB17_10
; %bb.5:                                ;   in Loop: Header=BB17_4 Depth=1
	v_mov_b32_e32 v15, 15
	s_mov_b32 s5, exec_lo
	v_cmpx_nle_f32_e32 0x42e20000, v8
	s_cbranch_execz .LBB17_9
; %bb.6:                                ;   in Loop: Header=BB17_4 Depth=1
	v_dual_mov_b32 v10, 15 :: v_dual_mov_b32 v9, 0
	s_mov_b32 s6, 0
.LBB17_7:                               ;   Parent Loop BB17_4 Depth=1
                                        ; =>  This Inner Loop Header: Depth=2
	s_delay_alu instid0(VALU_DEP_1) | instskip(NEXT) | instid1(VALU_DEP_1)
	v_add_nc_u32_e32 v11, v9, v10
	v_lshrrev_b32_e32 v15, 31, v11
	s_delay_alu instid0(VALU_DEP_1) | instskip(NEXT) | instid1(VALU_DEP_1)
	v_add_nc_u32_e32 v11, v11, v15
	v_ashrrev_i32_e32 v11, 1, v11
	global_load_i8 v15, v11, s[0:1]
	s_wait_loadcnt 0x0
	v_cvt_f32_i32_e32 v15, v15
	s_delay_alu instid0(VALU_DEP_1) | instskip(SKIP_2) | instid1(VALU_DEP_1)
	v_cmp_lt_f32_e32 vcc_lo, v8, v15
	v_dual_cndmask_b32 v9, v11, v9 :: v_dual_cndmask_b32 v10, v10, v11
	s_wait_xcnt 0x0
	v_sub_nc_u32_e32 v11, v10, v9
	s_delay_alu instid0(VALU_DEP_1) | instskip(SKIP_1) | instid1(SALU_CYCLE_1)
	v_cmp_gt_i32_e32 vcc_lo, 2, v11
	s_or_b32 s6, vcc_lo, s6
	s_and_not1_b32 exec_lo, exec_lo, s6
	s_cbranch_execnz .LBB17_7
; %bb.8:                                ;   in Loop: Header=BB17_4 Depth=1
	s_or_b32 exec_lo, exec_lo, s6
	v_ashrrev_i32_e32 v11, 31, v10
	s_delay_alu instid0(VALU_DEP_1) | instskip(NEXT) | instid1(VALU_DEP_1)
	v_add_nc_u64_e32 v[16:17], -1, v[10:11]
	v_add_nc_u64_e32 v[18:19], s[0:1], v[16:17]
	global_load_u16 v9, v[18:19], off
	s_wait_xcnt 0x0
	v_mov_b32_e32 v19, v8
	s_wait_loadcnt 0x0
	v_bfe_i32 v11, v9, 0, 8
	v_ashrrev_i16 v9, 8, v9
	s_delay_alu instid0(VALU_DEP_2) | instskip(NEXT) | instid1(VALU_DEP_2)
	v_bfe_i32 v11, v11, 0, 16
	v_bfe_i32 v9, v9, 0, 16
	s_delay_alu instid0(VALU_DEP_2) | instskip(NEXT) | instid1(VALU_DEP_2)
	v_cvt_f32_i32_e32 v18, v11
	v_cvt_f32_i32_e32 v9, v9
	s_delay_alu instid0(VALU_DEP_1) | instskip(NEXT) | instid1(VALU_DEP_1)
	v_pk_add_f32 v[8:9], v[8:9], v[18:19] neg_lo:[0,1] neg_hi:[0,1]
	v_cmp_lt_f32_e32 vcc_lo, v8, v9
	v_cndmask_b32_e32 v15, v10, v16, vcc_lo
.LBB17_9:                               ;   in Loop: Header=BB17_4 Depth=1
	s_or_b32 exec_lo, exec_lo, s5
.LBB17_10:                              ;   in Loop: Header=BB17_4 Depth=1
	s_delay_alu instid0(SALU_CYCLE_1) | instskip(SKIP_3) | instid1(VALU_DEP_1)
	s_or_b32 exec_lo, exec_lo, s4
	s_wait_loadcnt 0x0
	v_mul_f32_e32 v8, v13, v7
	s_mov_b32 s4, exec_lo
	v_cmpx_nge_f32_e32 0xc2fe0000, v8
	s_cbranch_execz .LBB17_3
; %bb.11:                               ;   in Loop: Header=BB17_4 Depth=1
	v_mov_b32_e32 v14, 15
	s_mov_b32 s5, exec_lo
	v_cmpx_nle_f32_e32 0x42e20000, v8
	s_cbranch_execz .LBB17_2
; %bb.12:                               ;   in Loop: Header=BB17_4 Depth=1
	v_dual_mov_b32 v10, 15 :: v_dual_mov_b32 v9, 0
	s_mov_b32 s6, 0
.LBB17_13:                              ;   Parent Loop BB17_4 Depth=1
                                        ; =>  This Inner Loop Header: Depth=2
	s_delay_alu instid0(VALU_DEP_1) | instskip(NEXT) | instid1(VALU_DEP_1)
	v_add_nc_u32_e32 v11, v9, v10
	v_lshrrev_b32_e32 v14, 31, v11
	s_delay_alu instid0(VALU_DEP_1) | instskip(NEXT) | instid1(VALU_DEP_1)
	v_add_nc_u32_e32 v11, v11, v14
	v_ashrrev_i32_e32 v11, 1, v11
	global_load_i8 v14, v11, s[0:1]
	s_wait_loadcnt 0x0
	v_cvt_f32_i32_e32 v14, v14
	s_delay_alu instid0(VALU_DEP_1) | instskip(SKIP_2) | instid1(VALU_DEP_1)
	v_cmp_lt_f32_e32 vcc_lo, v8, v14
	v_dual_cndmask_b32 v9, v11, v9 :: v_dual_cndmask_b32 v10, v10, v11
	s_wait_xcnt 0x0
	v_sub_nc_u32_e32 v11, v10, v9
	s_delay_alu instid0(VALU_DEP_1) | instskip(SKIP_1) | instid1(SALU_CYCLE_1)
	v_cmp_gt_i32_e32 vcc_lo, 2, v11
	s_or_b32 s6, vcc_lo, s6
	s_and_not1_b32 exec_lo, exec_lo, s6
	s_cbranch_execnz .LBB17_13
; %bb.14:                               ;   in Loop: Header=BB17_4 Depth=1
	s_or_b32 exec_lo, exec_lo, s6
	v_ashrrev_i32_e32 v11, 31, v10
	s_delay_alu instid0(VALU_DEP_1) | instskip(NEXT) | instid1(VALU_DEP_1)
	v_add_nc_u64_e32 v[16:17], -1, v[10:11]
	v_add_nc_u64_e32 v[18:19], s[0:1], v[16:17]
	global_load_u16 v9, v[18:19], off
	s_wait_xcnt 0x0
	v_mov_b32_e32 v19, v8
	s_wait_loadcnt 0x0
	v_bfe_i32 v11, v9, 0, 8
	v_ashrrev_i16 v9, 8, v9
	s_delay_alu instid0(VALU_DEP_2) | instskip(NEXT) | instid1(VALU_DEP_2)
	v_bfe_i32 v11, v11, 0, 16
	v_bfe_i32 v9, v9, 0, 16
	s_delay_alu instid0(VALU_DEP_2) | instskip(NEXT) | instid1(VALU_DEP_2)
	v_cvt_f32_i32_e32 v18, v11
	v_cvt_f32_i32_e32 v9, v9
	s_delay_alu instid0(VALU_DEP_1) | instskip(NEXT) | instid1(VALU_DEP_1)
	v_pk_add_f32 v[8:9], v[8:9], v[18:19] neg_lo:[0,1] neg_hi:[0,1]
	v_cmp_lt_f32_e32 vcc_lo, v8, v9
	v_cndmask_b32_e32 v14, v10, v16, vcc_lo
	s_branch .LBB17_2
.LBB17_15:
	v_div_scale_f32 v0, null, v2, v2, v3
	s_delay_alu instid0(VALU_DEP_1) | instskip(SKIP_1) | instid1(TRANS32_DEP_1)
	v_rcp_f32_e32 v1, v0
	v_nop
	v_fma_f32 v6, -v0, v1, 1.0
	s_delay_alu instid0(VALU_DEP_1) | instskip(SKIP_1) | instid1(VALU_DEP_1)
	v_fmac_f32_e32 v1, v6, v1
	v_div_scale_f32 v6, vcc_lo, v3, v2, v3
	v_mul_f32_e32 v7, v6, v1
	s_wait_xcnt 0x0
	s_delay_alu instid0(VALU_DEP_1) | instskip(NEXT) | instid1(VALU_DEP_1)
	v_fma_f32 v8, -v0, v7, v6
	v_fmac_f32_e32 v7, v8, v1
	s_delay_alu instid0(VALU_DEP_1) | instskip(NEXT) | instid1(VALU_DEP_1)
	v_fma_f32 v0, -v0, v7, v6
	v_div_fmas_f32 v0, v0, v1, v7
	v_cmp_lt_f32_e32 vcc_lo, 0, v2
	s_delay_alu instid0(VALU_DEP_2) | instskip(NEXT) | instid1(VALU_DEP_1)
	v_div_fixup_f32 v0, v0, v2, v3
	v_cndmask_b32_e32 v0, v12, v0, vcc_lo
	s_delay_alu instid0(VALU_DEP_1)
	v_cvt_f16_f32_e32 v0, v0
	global_store_b16 v[4:5], v0, off
.LBB17_16:
	s_endpgm
	.section	.rodata,"a",@progbits
	.p2align	6, 0x0
	.amdhsa_kernel _ZL16k_set_rows_quantIi12block_iq4_nlLi32ETnPFvPKfPT0_EXadL_ZL25quantize_f32_iq4_nl_blockS2_PS0_EEEvS2_PKT_S4_llllllllllllll15HIP_vector_typeIjLj3EESC_SC_SC_SC_
		.amdhsa_group_segment_fixed_size 0
		.amdhsa_private_segment_fixed_size 0
		.amdhsa_kernarg_size 456
		.amdhsa_user_sgpr_count 2
		.amdhsa_user_sgpr_dispatch_ptr 0
		.amdhsa_user_sgpr_queue_ptr 0
		.amdhsa_user_sgpr_kernarg_segment_ptr 1
		.amdhsa_user_sgpr_dispatch_id 0
		.amdhsa_user_sgpr_kernarg_preload_length 0
		.amdhsa_user_sgpr_kernarg_preload_offset 0
		.amdhsa_user_sgpr_private_segment_size 0
		.amdhsa_wavefront_size32 1
		.amdhsa_uses_dynamic_stack 0
		.amdhsa_enable_private_segment 0
		.amdhsa_system_sgpr_workgroup_id_x 1
		.amdhsa_system_sgpr_workgroup_id_y 0
		.amdhsa_system_sgpr_workgroup_id_z 0
		.amdhsa_system_sgpr_workgroup_info 0
		.amdhsa_system_vgpr_workitem_id 0
		.amdhsa_next_free_vgpr 46
		.amdhsa_next_free_sgpr 32
		.amdhsa_named_barrier_count 0
		.amdhsa_reserve_vcc 1
		.amdhsa_float_round_mode_32 0
		.amdhsa_float_round_mode_16_64 0
		.amdhsa_float_denorm_mode_32 3
		.amdhsa_float_denorm_mode_16_64 3
		.amdhsa_fp16_overflow 0
		.amdhsa_memory_ordered 1
		.amdhsa_forward_progress 1
		.amdhsa_inst_pref_size 22
		.amdhsa_round_robin_scheduling 0
		.amdhsa_exception_fp_ieee_invalid_op 0
		.amdhsa_exception_fp_denorm_src 0
		.amdhsa_exception_fp_ieee_div_zero 0
		.amdhsa_exception_fp_ieee_overflow 0
		.amdhsa_exception_fp_ieee_underflow 0
		.amdhsa_exception_fp_ieee_inexact 0
		.amdhsa_exception_int_div_zero 0
	.end_amdhsa_kernel
	.section	.text._ZL16k_set_rows_quantIi12block_iq4_nlLi32ETnPFvPKfPT0_EXadL_ZL25quantize_f32_iq4_nl_blockS2_PS0_EEEvS2_PKT_S4_llllllllllllll15HIP_vector_typeIjLj3EESC_SC_SC_SC_,"axG",@progbits,_ZL16k_set_rows_quantIi12block_iq4_nlLi32ETnPFvPKfPT0_EXadL_ZL25quantize_f32_iq4_nl_blockS2_PS0_EEEvS2_PKT_S4_llllllllllllll15HIP_vector_typeIjLj3EESC_SC_SC_SC_,comdat
.Lfunc_end17:
	.size	_ZL16k_set_rows_quantIi12block_iq4_nlLi32ETnPFvPKfPT0_EXadL_ZL25quantize_f32_iq4_nl_blockS2_PS0_EEEvS2_PKT_S4_llllllllllllll15HIP_vector_typeIjLj3EESC_SC_SC_SC_, .Lfunc_end17-_ZL16k_set_rows_quantIi12block_iq4_nlLi32ETnPFvPKfPT0_EXadL_ZL25quantize_f32_iq4_nl_blockS2_PS0_EEEvS2_PKT_S4_llllllllllllll15HIP_vector_typeIjLj3EESC_SC_SC_SC_
                                        ; -- End function
	.set _ZL16k_set_rows_quantIi12block_iq4_nlLi32ETnPFvPKfPT0_EXadL_ZL25quantize_f32_iq4_nl_blockS2_PS0_EEEvS2_PKT_S4_llllllllllllll15HIP_vector_typeIjLj3EESC_SC_SC_SC_.num_vgpr, 46
	.set _ZL16k_set_rows_quantIi12block_iq4_nlLi32ETnPFvPKfPT0_EXadL_ZL25quantize_f32_iq4_nl_blockS2_PS0_EEEvS2_PKT_S4_llllllllllllll15HIP_vector_typeIjLj3EESC_SC_SC_SC_.num_agpr, 0
	.set _ZL16k_set_rows_quantIi12block_iq4_nlLi32ETnPFvPKfPT0_EXadL_ZL25quantize_f32_iq4_nl_blockS2_PS0_EEEvS2_PKT_S4_llllllllllllll15HIP_vector_typeIjLj3EESC_SC_SC_SC_.numbered_sgpr, 32
	.set _ZL16k_set_rows_quantIi12block_iq4_nlLi32ETnPFvPKfPT0_EXadL_ZL25quantize_f32_iq4_nl_blockS2_PS0_EEEvS2_PKT_S4_llllllllllllll15HIP_vector_typeIjLj3EESC_SC_SC_SC_.num_named_barrier, 0
	.set _ZL16k_set_rows_quantIi12block_iq4_nlLi32ETnPFvPKfPT0_EXadL_ZL25quantize_f32_iq4_nl_blockS2_PS0_EEEvS2_PKT_S4_llllllllllllll15HIP_vector_typeIjLj3EESC_SC_SC_SC_.private_seg_size, 0
	.set _ZL16k_set_rows_quantIi12block_iq4_nlLi32ETnPFvPKfPT0_EXadL_ZL25quantize_f32_iq4_nl_blockS2_PS0_EEEvS2_PKT_S4_llllllllllllll15HIP_vector_typeIjLj3EESC_SC_SC_SC_.uses_vcc, 1
	.set _ZL16k_set_rows_quantIi12block_iq4_nlLi32ETnPFvPKfPT0_EXadL_ZL25quantize_f32_iq4_nl_blockS2_PS0_EEEvS2_PKT_S4_llllllllllllll15HIP_vector_typeIjLj3EESC_SC_SC_SC_.uses_flat_scratch, 0
	.set _ZL16k_set_rows_quantIi12block_iq4_nlLi32ETnPFvPKfPT0_EXadL_ZL25quantize_f32_iq4_nl_blockS2_PS0_EEEvS2_PKT_S4_llllllllllllll15HIP_vector_typeIjLj3EESC_SC_SC_SC_.has_dyn_sized_stack, 0
	.set _ZL16k_set_rows_quantIi12block_iq4_nlLi32ETnPFvPKfPT0_EXadL_ZL25quantize_f32_iq4_nl_blockS2_PS0_EEEvS2_PKT_S4_llllllllllllll15HIP_vector_typeIjLj3EESC_SC_SC_SC_.has_recursion, 0
	.set _ZL16k_set_rows_quantIi12block_iq4_nlLi32ETnPFvPKfPT0_EXadL_ZL25quantize_f32_iq4_nl_blockS2_PS0_EEEvS2_PKT_S4_llllllllllllll15HIP_vector_typeIjLj3EESC_SC_SC_SC_.has_indirect_call, 0
	.section	.AMDGPU.csdata,"",@progbits
; Kernel info:
; codeLenInByte = 2780
; TotalNumSgprs: 34
; NumVgprs: 46
; ScratchSize: 0
; MemoryBound: 0
; FloatMode: 240
; IeeeMode: 1
; LDSByteSize: 0 bytes/workgroup (compile time only)
; SGPRBlocks: 0
; VGPRBlocks: 2
; NumSGPRsForWavesPerEU: 34
; NumVGPRsForWavesPerEU: 46
; NamedBarCnt: 0
; Occupancy: 16
; WaveLimiterHint : 1
; COMPUTE_PGM_RSRC2:SCRATCH_EN: 0
; COMPUTE_PGM_RSRC2:USER_SGPR: 2
; COMPUTE_PGM_RSRC2:TRAP_HANDLER: 0
; COMPUTE_PGM_RSRC2:TGID_X_EN: 1
; COMPUTE_PGM_RSRC2:TGID_Y_EN: 0
; COMPUTE_PGM_RSRC2:TGID_Z_EN: 0
; COMPUTE_PGM_RSRC2:TIDIG_COMP_CNT: 0
	.section	.AMDGPU.gpr_maximums,"",@progbits
	.set amdgpu.max_num_vgpr, 0
	.set amdgpu.max_num_agpr, 0
	.set amdgpu.max_num_sgpr, 0
	.section	.AMDGPU.csdata,"",@progbits
	.type	_ZL13kvalues_iq4nl,@object      ; @_ZL13kvalues_iq4nl
	.section	.rodata.cst16,"aM",@progbits,16
	.p2align	4, 0x0
_ZL13kvalues_iq4nl:
	.ascii	"\201\230\255\277\317\335\352\366\001\r\031&5EYq"
	.size	_ZL13kvalues_iq4nl, 16

	.type	__hip_cuid_877bf917be224c9d,@object ; @__hip_cuid_877bf917be224c9d
	.section	.bss,"aw",@nobits
	.globl	__hip_cuid_877bf917be224c9d
__hip_cuid_877bf917be224c9d:
	.byte	0                               ; 0x0
	.size	__hip_cuid_877bf917be224c9d, 1

	.ident	"AMD clang version 22.0.0git (https://github.com/RadeonOpenCompute/llvm-project roc-7.2.4 26084 f58b06dce1f9c15707c5f808fd002e18c2accf7e)"
	.section	".note.GNU-stack","",@progbits
	.addrsig
	.addrsig_sym __hip_cuid_877bf917be224c9d
	.amdgpu_metadata
---
amdhsa.kernels:
  - .args:
      - .address_space:  global
        .offset:         0
        .size:           8
        .value_kind:     global_buffer
      - .address_space:  global
        .offset:         8
        .size:           8
        .value_kind:     global_buffer
      - .address_space:  global
        .offset:         16
        .size:           8
        .value_kind:     global_buffer
      - .offset:         24
        .size:           8
        .value_kind:     by_value
      - .offset:         32
        .size:           8
        .value_kind:     by_value
      - .offset:         40
        .size:           8
        .value_kind:     by_value
      - .offset:         48
        .size:           8
        .value_kind:     by_value
      - .offset:         56
        .size:           8
        .value_kind:     by_value
      - .offset:         64
        .size:           8
        .value_kind:     by_value
      - .offset:         72
        .size:           8
        .value_kind:     by_value
      - .offset:         80
        .size:           8
        .value_kind:     by_value
      - .offset:         88
        .size:           8
        .value_kind:     by_value
      - .offset:         96
        .size:           8
        .value_kind:     by_value
      - .offset:         104
        .size:           8
        .value_kind:     by_value
      - .offset:         112
        .size:           8
        .value_kind:     by_value
      - .offset:         120
        .size:           8
        .value_kind:     by_value
      - .offset:         128
        .size:           8
        .value_kind:     by_value
      - .offset:         136
        .size:           12
        .value_kind:     by_value
      - .offset:         148
        .size:           12
        .value_kind:     by_value
      - .offset:         160
        .size:           12
        .value_kind:     by_value
      - .offset:         172
        .size:           12
        .value_kind:     by_value
      - .offset:         184
        .size:           12
        .value_kind:     by_value
      - .offset:         200
        .size:           4
        .value_kind:     hidden_block_count_x
      - .offset:         204
        .size:           4
        .value_kind:     hidden_block_count_y
      - .offset:         208
        .size:           4
        .value_kind:     hidden_block_count_z
      - .offset:         212
        .size:           2
        .value_kind:     hidden_group_size_x
      - .offset:         214
        .size:           2
        .value_kind:     hidden_group_size_y
      - .offset:         216
        .size:           2
        .value_kind:     hidden_group_size_z
      - .offset:         218
        .size:           2
        .value_kind:     hidden_remainder_x
      - .offset:         220
        .size:           2
        .value_kind:     hidden_remainder_y
      - .offset:         222
        .size:           2
        .value_kind:     hidden_remainder_z
      - .offset:         240
        .size:           8
        .value_kind:     hidden_global_offset_x
      - .offset:         248
        .size:           8
        .value_kind:     hidden_global_offset_y
      - .offset:         256
        .size:           8
        .value_kind:     hidden_global_offset_z
      - .offset:         264
        .size:           2
        .value_kind:     hidden_grid_dims
    .group_segment_fixed_size: 0
    .kernarg_segment_align: 8
    .kernarg_segment_size: 456
    .language:       OpenCL C
    .language_version:
      - 2
      - 0
    .max_flat_workgroup_size: 1024
    .name:           _ZL10k_set_rowsIflfEvPKT_PKT0_PT1_llllllllllllll15HIP_vector_typeIjLj3EES9_S9_S9_S9_
    .private_segment_fixed_size: 0
    .sgpr_count:     47
    .sgpr_spill_count: 0
    .symbol:         _ZL10k_set_rowsIflfEvPKT_PKT0_PT1_llllllllllllll15HIP_vector_typeIjLj3EES9_S9_S9_S9_.kd
    .uniform_work_group_size: 1
    .uses_dynamic_stack: false
    .vgpr_count:     16
    .vgpr_spill_count: 0
    .wavefront_size: 32
  - .args:
      - .address_space:  global
        .offset:         0
        .size:           8
        .value_kind:     global_buffer
      - .address_space:  global
        .offset:         8
        .size:           8
        .value_kind:     global_buffer
      - .address_space:  global
        .offset:         16
        .size:           8
        .value_kind:     global_buffer
      - .offset:         24
        .size:           8
        .value_kind:     by_value
      - .offset:         32
        .size:           8
        .value_kind:     by_value
      - .offset:         40
        .size:           8
        .value_kind:     by_value
      - .offset:         48
        .size:           8
        .value_kind:     by_value
      - .offset:         56
        .size:           8
        .value_kind:     by_value
      - .offset:         64
        .size:           8
        .value_kind:     by_value
      - .offset:         72
        .size:           8
        .value_kind:     by_value
      - .offset:         80
        .size:           8
        .value_kind:     by_value
      - .offset:         88
        .size:           8
        .value_kind:     by_value
      - .offset:         96
        .size:           8
        .value_kind:     by_value
      - .offset:         104
        .size:           8
        .value_kind:     by_value
      - .offset:         112
        .size:           8
        .value_kind:     by_value
      - .offset:         120
        .size:           8
        .value_kind:     by_value
      - .offset:         128
        .size:           8
        .value_kind:     by_value
      - .offset:         136
        .size:           12
        .value_kind:     by_value
      - .offset:         148
        .size:           12
        .value_kind:     by_value
      - .offset:         160
        .size:           12
        .value_kind:     by_value
      - .offset:         172
        .size:           12
        .value_kind:     by_value
      - .offset:         184
        .size:           12
        .value_kind:     by_value
      - .offset:         200
        .size:           4
        .value_kind:     hidden_block_count_x
      - .offset:         204
        .size:           4
        .value_kind:     hidden_block_count_y
      - .offset:         208
        .size:           4
        .value_kind:     hidden_block_count_z
      - .offset:         212
        .size:           2
        .value_kind:     hidden_group_size_x
      - .offset:         214
        .size:           2
        .value_kind:     hidden_group_size_y
      - .offset:         216
        .size:           2
        .value_kind:     hidden_group_size_z
      - .offset:         218
        .size:           2
        .value_kind:     hidden_remainder_x
      - .offset:         220
        .size:           2
        .value_kind:     hidden_remainder_y
      - .offset:         222
        .size:           2
        .value_kind:     hidden_remainder_z
      - .offset:         240
        .size:           8
        .value_kind:     hidden_global_offset_x
      - .offset:         248
        .size:           8
        .value_kind:     hidden_global_offset_y
      - .offset:         256
        .size:           8
        .value_kind:     hidden_global_offset_z
      - .offset:         264
        .size:           2
        .value_kind:     hidden_grid_dims
    .group_segment_fixed_size: 0
    .kernarg_segment_align: 8
    .kernarg_segment_size: 456
    .language:       OpenCL C
    .language_version:
      - 2
      - 0
    .max_flat_workgroup_size: 1024
    .name:           _ZL10k_set_rowsIfl6__halfEvPKT_PKT0_PT1_llllllllllllll15HIP_vector_typeIjLj3EESA_SA_SA_SA_
    .private_segment_fixed_size: 0
    .sgpr_count:     47
    .sgpr_spill_count: 0
    .symbol:         _ZL10k_set_rowsIfl6__halfEvPKT_PKT0_PT1_llllllllllllll15HIP_vector_typeIjLj3EESA_SA_SA_SA_.kd
    .uniform_work_group_size: 1
    .uses_dynamic_stack: false
    .vgpr_count:     16
    .vgpr_spill_count: 0
    .wavefront_size: 32
  - .args:
      - .address_space:  global
        .offset:         0
        .size:           8
        .value_kind:     global_buffer
      - .address_space:  global
        .offset:         8
        .size:           8
        .value_kind:     global_buffer
      - .address_space:  global
        .offset:         16
        .size:           8
        .value_kind:     global_buffer
      - .offset:         24
        .size:           8
        .value_kind:     by_value
      - .offset:         32
        .size:           8
        .value_kind:     by_value
      - .offset:         40
        .size:           8
        .value_kind:     by_value
      - .offset:         48
        .size:           8
        .value_kind:     by_value
      - .offset:         56
        .size:           8
        .value_kind:     by_value
      - .offset:         64
        .size:           8
        .value_kind:     by_value
      - .offset:         72
        .size:           8
        .value_kind:     by_value
      - .offset:         80
        .size:           8
        .value_kind:     by_value
      - .offset:         88
        .size:           8
        .value_kind:     by_value
      - .offset:         96
        .size:           8
        .value_kind:     by_value
      - .offset:         104
        .size:           8
        .value_kind:     by_value
      - .offset:         112
        .size:           8
        .value_kind:     by_value
      - .offset:         120
        .size:           8
        .value_kind:     by_value
      - .offset:         128
        .size:           8
        .value_kind:     by_value
      - .offset:         136
        .size:           12
        .value_kind:     by_value
      - .offset:         148
        .size:           12
        .value_kind:     by_value
      - .offset:         160
        .size:           12
        .value_kind:     by_value
      - .offset:         172
        .size:           12
        .value_kind:     by_value
      - .offset:         184
        .size:           12
        .value_kind:     by_value
      - .offset:         200
        .size:           4
        .value_kind:     hidden_block_count_x
      - .offset:         204
        .size:           4
        .value_kind:     hidden_block_count_y
      - .offset:         208
        .size:           4
        .value_kind:     hidden_block_count_z
      - .offset:         212
        .size:           2
        .value_kind:     hidden_group_size_x
      - .offset:         214
        .size:           2
        .value_kind:     hidden_group_size_y
      - .offset:         216
        .size:           2
        .value_kind:     hidden_group_size_z
      - .offset:         218
        .size:           2
        .value_kind:     hidden_remainder_x
      - .offset:         220
        .size:           2
        .value_kind:     hidden_remainder_y
      - .offset:         222
        .size:           2
        .value_kind:     hidden_remainder_z
      - .offset:         240
        .size:           8
        .value_kind:     hidden_global_offset_x
      - .offset:         248
        .size:           8
        .value_kind:     hidden_global_offset_y
      - .offset:         256
        .size:           8
        .value_kind:     hidden_global_offset_z
      - .offset:         264
        .size:           2
        .value_kind:     hidden_grid_dims
    .group_segment_fixed_size: 0
    .kernarg_segment_align: 8
    .kernarg_segment_size: 456
    .language:       OpenCL C
    .language_version:
      - 2
      - 0
    .max_flat_workgroup_size: 1024
    .name:           _ZL10k_set_rowsIfl14__hip_bfloat16EvPKT_PKT0_PT1_llllllllllllll15HIP_vector_typeIjLj3EESA_SA_SA_SA_
    .private_segment_fixed_size: 0
    .sgpr_count:     47
    .sgpr_spill_count: 0
    .symbol:         _ZL10k_set_rowsIfl14__hip_bfloat16EvPKT_PKT0_PT1_llllllllllllll15HIP_vector_typeIjLj3EESA_SA_SA_SA_.kd
    .uniform_work_group_size: 1
    .uses_dynamic_stack: false
    .vgpr_count:     16
    .vgpr_spill_count: 0
    .wavefront_size: 32
  - .args:
      - .actual_access:  read_only
        .address_space:  global
        .offset:         0
        .size:           8
        .value_kind:     global_buffer
      - .actual_access:  read_only
        .address_space:  global
        .offset:         8
        .size:           8
        .value_kind:     global_buffer
      - .actual_access:  write_only
        .address_space:  global
        .offset:         16
        .size:           8
        .value_kind:     global_buffer
      - .offset:         24
        .size:           8
        .value_kind:     by_value
      - .offset:         32
        .size:           8
        .value_kind:     by_value
      - .offset:         40
        .size:           8
        .value_kind:     by_value
      - .offset:         48
        .size:           8
        .value_kind:     by_value
      - .offset:         56
        .size:           8
        .value_kind:     by_value
      - .offset:         64
        .size:           8
        .value_kind:     by_value
      - .offset:         72
        .size:           8
        .value_kind:     by_value
      - .offset:         80
        .size:           8
        .value_kind:     by_value
      - .offset:         88
        .size:           8
        .value_kind:     by_value
      - .offset:         96
        .size:           8
        .value_kind:     by_value
      - .offset:         104
        .size:           8
        .value_kind:     by_value
      - .offset:         112
        .size:           8
        .value_kind:     by_value
      - .offset:         120
        .size:           8
        .value_kind:     by_value
      - .offset:         128
        .size:           8
        .value_kind:     by_value
      - .offset:         136
        .size:           12
        .value_kind:     by_value
      - .offset:         148
        .size:           12
        .value_kind:     by_value
      - .offset:         160
        .size:           12
        .value_kind:     by_value
      - .offset:         172
        .size:           12
        .value_kind:     by_value
      - .offset:         184
        .size:           12
        .value_kind:     by_value
      - .offset:         200
        .size:           4
        .value_kind:     hidden_block_count_x
      - .offset:         204
        .size:           4
        .value_kind:     hidden_block_count_y
      - .offset:         208
        .size:           4
        .value_kind:     hidden_block_count_z
      - .offset:         212
        .size:           2
        .value_kind:     hidden_group_size_x
      - .offset:         214
        .size:           2
        .value_kind:     hidden_group_size_y
      - .offset:         216
        .size:           2
        .value_kind:     hidden_group_size_z
      - .offset:         218
        .size:           2
        .value_kind:     hidden_remainder_x
      - .offset:         220
        .size:           2
        .value_kind:     hidden_remainder_y
      - .offset:         222
        .size:           2
        .value_kind:     hidden_remainder_z
      - .offset:         240
        .size:           8
        .value_kind:     hidden_global_offset_x
      - .offset:         248
        .size:           8
        .value_kind:     hidden_global_offset_y
      - .offset:         256
        .size:           8
        .value_kind:     hidden_global_offset_z
      - .offset:         264
        .size:           2
        .value_kind:     hidden_grid_dims
    .group_segment_fixed_size: 0
    .kernarg_segment_align: 8
    .kernarg_segment_size: 456
    .language:       OpenCL C
    .language_version:
      - 2
      - 0
    .max_flat_workgroup_size: 1024
    .name:           _ZL16k_set_rows_quantIl10block_q4_0Li32ETnPFvPKfPT0_EXadL_ZL23quantize_f32_q4_0_blockS2_PS0_EEEvS2_PKT_S4_llllllllllllll15HIP_vector_typeIjLj3EESC_SC_SC_SC_
    .private_segment_fixed_size: 0
    .sgpr_count:     34
    .sgpr_spill_count: 0
    .symbol:         _ZL16k_set_rows_quantIl10block_q4_0Li32ETnPFvPKfPT0_EXadL_ZL23quantize_f32_q4_0_blockS2_PS0_EEEvS2_PKT_S4_llllllllllllll15HIP_vector_typeIjLj3EESC_SC_SC_SC_.kd
    .uniform_work_group_size: 1
    .uses_dynamic_stack: false
    .vgpr_count:     61
    .vgpr_spill_count: 0
    .wavefront_size: 32
  - .args:
      - .actual_access:  read_only
        .address_space:  global
        .offset:         0
        .size:           8
        .value_kind:     global_buffer
      - .actual_access:  read_only
        .address_space:  global
        .offset:         8
        .size:           8
        .value_kind:     global_buffer
      - .actual_access:  write_only
        .address_space:  global
        .offset:         16
        .size:           8
        .value_kind:     global_buffer
      - .offset:         24
        .size:           8
        .value_kind:     by_value
      - .offset:         32
        .size:           8
        .value_kind:     by_value
      - .offset:         40
        .size:           8
        .value_kind:     by_value
      - .offset:         48
        .size:           8
        .value_kind:     by_value
      - .offset:         56
        .size:           8
        .value_kind:     by_value
      - .offset:         64
        .size:           8
        .value_kind:     by_value
      - .offset:         72
        .size:           8
        .value_kind:     by_value
      - .offset:         80
        .size:           8
        .value_kind:     by_value
      - .offset:         88
        .size:           8
        .value_kind:     by_value
      - .offset:         96
        .size:           8
        .value_kind:     by_value
      - .offset:         104
        .size:           8
        .value_kind:     by_value
      - .offset:         112
        .size:           8
        .value_kind:     by_value
      - .offset:         120
        .size:           8
        .value_kind:     by_value
      - .offset:         128
        .size:           8
        .value_kind:     by_value
      - .offset:         136
        .size:           12
        .value_kind:     by_value
      - .offset:         148
        .size:           12
        .value_kind:     by_value
      - .offset:         160
        .size:           12
        .value_kind:     by_value
      - .offset:         172
        .size:           12
        .value_kind:     by_value
      - .offset:         184
        .size:           12
        .value_kind:     by_value
      - .offset:         200
        .size:           4
        .value_kind:     hidden_block_count_x
      - .offset:         204
        .size:           4
        .value_kind:     hidden_block_count_y
      - .offset:         208
        .size:           4
        .value_kind:     hidden_block_count_z
      - .offset:         212
        .size:           2
        .value_kind:     hidden_group_size_x
      - .offset:         214
        .size:           2
        .value_kind:     hidden_group_size_y
      - .offset:         216
        .size:           2
        .value_kind:     hidden_group_size_z
      - .offset:         218
        .size:           2
        .value_kind:     hidden_remainder_x
      - .offset:         220
        .size:           2
        .value_kind:     hidden_remainder_y
      - .offset:         222
        .size:           2
        .value_kind:     hidden_remainder_z
      - .offset:         240
        .size:           8
        .value_kind:     hidden_global_offset_x
      - .offset:         248
        .size:           8
        .value_kind:     hidden_global_offset_y
      - .offset:         256
        .size:           8
        .value_kind:     hidden_global_offset_z
      - .offset:         264
        .size:           2
        .value_kind:     hidden_grid_dims
    .group_segment_fixed_size: 0
    .kernarg_segment_align: 8
    .kernarg_segment_size: 456
    .language:       OpenCL C
    .language_version:
      - 2
      - 0
    .max_flat_workgroup_size: 1024
    .name:           _ZL16k_set_rows_quantIl10block_q4_1Li32ETnPFvPKfPT0_EXadL_ZL23quantize_f32_q4_1_blockS2_PS0_EEEvS2_PKT_S4_llllllllllllll15HIP_vector_typeIjLj3EESC_SC_SC_SC_
    .private_segment_fixed_size: 0
    .sgpr_count:     34
    .sgpr_spill_count: 0
    .symbol:         _ZL16k_set_rows_quantIl10block_q4_1Li32ETnPFvPKfPT0_EXadL_ZL23quantize_f32_q4_1_blockS2_PS0_EEEvS2_PKT_S4_llllllllllllll15HIP_vector_typeIjLj3EESC_SC_SC_SC_.kd
    .uniform_work_group_size: 1
    .uses_dynamic_stack: false
    .vgpr_count:     61
    .vgpr_spill_count: 0
    .wavefront_size: 32
  - .args:
      - .actual_access:  read_only
        .address_space:  global
        .offset:         0
        .size:           8
        .value_kind:     global_buffer
      - .actual_access:  read_only
        .address_space:  global
        .offset:         8
        .size:           8
        .value_kind:     global_buffer
      - .actual_access:  write_only
        .address_space:  global
        .offset:         16
        .size:           8
        .value_kind:     global_buffer
      - .offset:         24
        .size:           8
        .value_kind:     by_value
      - .offset:         32
        .size:           8
        .value_kind:     by_value
      - .offset:         40
        .size:           8
        .value_kind:     by_value
      - .offset:         48
        .size:           8
        .value_kind:     by_value
      - .offset:         56
        .size:           8
        .value_kind:     by_value
      - .offset:         64
        .size:           8
        .value_kind:     by_value
      - .offset:         72
        .size:           8
        .value_kind:     by_value
      - .offset:         80
        .size:           8
        .value_kind:     by_value
      - .offset:         88
        .size:           8
        .value_kind:     by_value
      - .offset:         96
        .size:           8
        .value_kind:     by_value
      - .offset:         104
        .size:           8
        .value_kind:     by_value
      - .offset:         112
        .size:           8
        .value_kind:     by_value
      - .offset:         120
        .size:           8
        .value_kind:     by_value
      - .offset:         128
        .size:           8
        .value_kind:     by_value
      - .offset:         136
        .size:           12
        .value_kind:     by_value
      - .offset:         148
        .size:           12
        .value_kind:     by_value
      - .offset:         160
        .size:           12
        .value_kind:     by_value
      - .offset:         172
        .size:           12
        .value_kind:     by_value
      - .offset:         184
        .size:           12
        .value_kind:     by_value
      - .offset:         200
        .size:           4
        .value_kind:     hidden_block_count_x
      - .offset:         204
        .size:           4
        .value_kind:     hidden_block_count_y
      - .offset:         208
        .size:           4
        .value_kind:     hidden_block_count_z
      - .offset:         212
        .size:           2
        .value_kind:     hidden_group_size_x
      - .offset:         214
        .size:           2
        .value_kind:     hidden_group_size_y
      - .offset:         216
        .size:           2
        .value_kind:     hidden_group_size_z
      - .offset:         218
        .size:           2
        .value_kind:     hidden_remainder_x
      - .offset:         220
        .size:           2
        .value_kind:     hidden_remainder_y
      - .offset:         222
        .size:           2
        .value_kind:     hidden_remainder_z
      - .offset:         240
        .size:           8
        .value_kind:     hidden_global_offset_x
      - .offset:         248
        .size:           8
        .value_kind:     hidden_global_offset_y
      - .offset:         256
        .size:           8
        .value_kind:     hidden_global_offset_z
      - .offset:         264
        .size:           2
        .value_kind:     hidden_grid_dims
    .group_segment_fixed_size: 0
    .kernarg_segment_align: 8
    .kernarg_segment_size: 456
    .language:       OpenCL C
    .language_version:
      - 2
      - 0
    .max_flat_workgroup_size: 1024
    .name:           _ZL16k_set_rows_quantIl10block_q5_0Li32ETnPFvPKfPT0_EXadL_ZL23quantize_f32_q5_0_blockS2_PS0_EEEvS2_PKT_S4_llllllllllllll15HIP_vector_typeIjLj3EESC_SC_SC_SC_
    .private_segment_fixed_size: 0
    .sgpr_count:     34
    .sgpr_spill_count: 0
    .symbol:         _ZL16k_set_rows_quantIl10block_q5_0Li32ETnPFvPKfPT0_EXadL_ZL23quantize_f32_q5_0_blockS2_PS0_EEEvS2_PKT_S4_llllllllllllll15HIP_vector_typeIjLj3EESC_SC_SC_SC_.kd
    .uniform_work_group_size: 1
    .uses_dynamic_stack: false
    .vgpr_count:     52
    .vgpr_spill_count: 0
    .wavefront_size: 32
  - .args:
      - .actual_access:  read_only
        .address_space:  global
        .offset:         0
        .size:           8
        .value_kind:     global_buffer
      - .actual_access:  read_only
        .address_space:  global
        .offset:         8
        .size:           8
        .value_kind:     global_buffer
      - .actual_access:  write_only
        .address_space:  global
        .offset:         16
        .size:           8
        .value_kind:     global_buffer
      - .offset:         24
        .size:           8
        .value_kind:     by_value
      - .offset:         32
        .size:           8
        .value_kind:     by_value
      - .offset:         40
        .size:           8
        .value_kind:     by_value
      - .offset:         48
        .size:           8
        .value_kind:     by_value
      - .offset:         56
        .size:           8
        .value_kind:     by_value
      - .offset:         64
        .size:           8
        .value_kind:     by_value
      - .offset:         72
        .size:           8
        .value_kind:     by_value
      - .offset:         80
        .size:           8
        .value_kind:     by_value
      - .offset:         88
        .size:           8
        .value_kind:     by_value
      - .offset:         96
        .size:           8
        .value_kind:     by_value
      - .offset:         104
        .size:           8
        .value_kind:     by_value
      - .offset:         112
        .size:           8
        .value_kind:     by_value
      - .offset:         120
        .size:           8
        .value_kind:     by_value
      - .offset:         128
        .size:           8
        .value_kind:     by_value
      - .offset:         136
        .size:           12
        .value_kind:     by_value
      - .offset:         148
        .size:           12
        .value_kind:     by_value
      - .offset:         160
        .size:           12
        .value_kind:     by_value
      - .offset:         172
        .size:           12
        .value_kind:     by_value
      - .offset:         184
        .size:           12
        .value_kind:     by_value
      - .offset:         200
        .size:           4
        .value_kind:     hidden_block_count_x
      - .offset:         204
        .size:           4
        .value_kind:     hidden_block_count_y
      - .offset:         208
        .size:           4
        .value_kind:     hidden_block_count_z
      - .offset:         212
        .size:           2
        .value_kind:     hidden_group_size_x
      - .offset:         214
        .size:           2
        .value_kind:     hidden_group_size_y
      - .offset:         216
        .size:           2
        .value_kind:     hidden_group_size_z
      - .offset:         218
        .size:           2
        .value_kind:     hidden_remainder_x
      - .offset:         220
        .size:           2
        .value_kind:     hidden_remainder_y
      - .offset:         222
        .size:           2
        .value_kind:     hidden_remainder_z
      - .offset:         240
        .size:           8
        .value_kind:     hidden_global_offset_x
      - .offset:         248
        .size:           8
        .value_kind:     hidden_global_offset_y
      - .offset:         256
        .size:           8
        .value_kind:     hidden_global_offset_z
      - .offset:         264
        .size:           2
        .value_kind:     hidden_grid_dims
    .group_segment_fixed_size: 0
    .kernarg_segment_align: 8
    .kernarg_segment_size: 456
    .language:       OpenCL C
    .language_version:
      - 2
      - 0
    .max_flat_workgroup_size: 1024
    .name:           _ZL16k_set_rows_quantIl10block_q5_1Li32ETnPFvPKfPT0_EXadL_ZL23quantize_f32_q5_1_blockS2_PS0_EEEvS2_PKT_S4_llllllllllllll15HIP_vector_typeIjLj3EESC_SC_SC_SC_
    .private_segment_fixed_size: 0
    .sgpr_count:     34
    .sgpr_spill_count: 0
    .symbol:         _ZL16k_set_rows_quantIl10block_q5_1Li32ETnPFvPKfPT0_EXadL_ZL23quantize_f32_q5_1_blockS2_PS0_EEEvS2_PKT_S4_llllllllllllll15HIP_vector_typeIjLj3EESC_SC_SC_SC_.kd
    .uniform_work_group_size: 1
    .uses_dynamic_stack: false
    .vgpr_count:     52
    .vgpr_spill_count: 0
    .wavefront_size: 32
  - .args:
      - .actual_access:  read_only
        .address_space:  global
        .offset:         0
        .size:           8
        .value_kind:     global_buffer
      - .actual_access:  read_only
        .address_space:  global
        .offset:         8
        .size:           8
        .value_kind:     global_buffer
      - .actual_access:  write_only
        .address_space:  global
        .offset:         16
        .size:           8
        .value_kind:     global_buffer
      - .offset:         24
        .size:           8
        .value_kind:     by_value
      - .offset:         32
        .size:           8
        .value_kind:     by_value
      - .offset:         40
        .size:           8
        .value_kind:     by_value
      - .offset:         48
        .size:           8
        .value_kind:     by_value
      - .offset:         56
        .size:           8
        .value_kind:     by_value
      - .offset:         64
        .size:           8
        .value_kind:     by_value
      - .offset:         72
        .size:           8
        .value_kind:     by_value
      - .offset:         80
        .size:           8
        .value_kind:     by_value
      - .offset:         88
        .size:           8
        .value_kind:     by_value
      - .offset:         96
        .size:           8
        .value_kind:     by_value
      - .offset:         104
        .size:           8
        .value_kind:     by_value
      - .offset:         112
        .size:           8
        .value_kind:     by_value
      - .offset:         120
        .size:           8
        .value_kind:     by_value
      - .offset:         128
        .size:           8
        .value_kind:     by_value
      - .offset:         136
        .size:           12
        .value_kind:     by_value
      - .offset:         148
        .size:           12
        .value_kind:     by_value
      - .offset:         160
        .size:           12
        .value_kind:     by_value
      - .offset:         172
        .size:           12
        .value_kind:     by_value
      - .offset:         184
        .size:           12
        .value_kind:     by_value
      - .offset:         200
        .size:           4
        .value_kind:     hidden_block_count_x
      - .offset:         204
        .size:           4
        .value_kind:     hidden_block_count_y
      - .offset:         208
        .size:           4
        .value_kind:     hidden_block_count_z
      - .offset:         212
        .size:           2
        .value_kind:     hidden_group_size_x
      - .offset:         214
        .size:           2
        .value_kind:     hidden_group_size_y
      - .offset:         216
        .size:           2
        .value_kind:     hidden_group_size_z
      - .offset:         218
        .size:           2
        .value_kind:     hidden_remainder_x
      - .offset:         220
        .size:           2
        .value_kind:     hidden_remainder_y
      - .offset:         222
        .size:           2
        .value_kind:     hidden_remainder_z
      - .offset:         240
        .size:           8
        .value_kind:     hidden_global_offset_x
      - .offset:         248
        .size:           8
        .value_kind:     hidden_global_offset_y
      - .offset:         256
        .size:           8
        .value_kind:     hidden_global_offset_z
      - .offset:         264
        .size:           2
        .value_kind:     hidden_grid_dims
    .group_segment_fixed_size: 0
    .kernarg_segment_align: 8
    .kernarg_segment_size: 456
    .language:       OpenCL C
    .language_version:
      - 2
      - 0
    .max_flat_workgroup_size: 1024
    .name:           _ZL16k_set_rows_quantIl10block_q8_0Li32ETnPFvPKfPT0_EXadL_ZL23quantize_f32_q8_0_blockS2_PS0_EEEvS2_PKT_S4_llllllllllllll15HIP_vector_typeIjLj3EESC_SC_SC_SC_
    .private_segment_fixed_size: 0
    .sgpr_count:     34
    .sgpr_spill_count: 0
    .symbol:         _ZL16k_set_rows_quantIl10block_q8_0Li32ETnPFvPKfPT0_EXadL_ZL23quantize_f32_q8_0_blockS2_PS0_EEEvS2_PKT_S4_llllllllllllll15HIP_vector_typeIjLj3EESC_SC_SC_SC_.kd
    .uniform_work_group_size: 1
    .uses_dynamic_stack: false
    .vgpr_count:     76
    .vgpr_spill_count: 0
    .wavefront_size: 32
  - .args:
      - .actual_access:  read_only
        .address_space:  global
        .offset:         0
        .size:           8
        .value_kind:     global_buffer
      - .actual_access:  read_only
        .address_space:  global
        .offset:         8
        .size:           8
        .value_kind:     global_buffer
      - .actual_access:  write_only
        .address_space:  global
        .offset:         16
        .size:           8
        .value_kind:     global_buffer
      - .offset:         24
        .size:           8
        .value_kind:     by_value
      - .offset:         32
        .size:           8
        .value_kind:     by_value
      - .offset:         40
        .size:           8
        .value_kind:     by_value
      - .offset:         48
        .size:           8
        .value_kind:     by_value
      - .offset:         56
        .size:           8
        .value_kind:     by_value
      - .offset:         64
        .size:           8
        .value_kind:     by_value
      - .offset:         72
        .size:           8
        .value_kind:     by_value
      - .offset:         80
        .size:           8
        .value_kind:     by_value
      - .offset:         88
        .size:           8
        .value_kind:     by_value
      - .offset:         96
        .size:           8
        .value_kind:     by_value
      - .offset:         104
        .size:           8
        .value_kind:     by_value
      - .offset:         112
        .size:           8
        .value_kind:     by_value
      - .offset:         120
        .size:           8
        .value_kind:     by_value
      - .offset:         128
        .size:           8
        .value_kind:     by_value
      - .offset:         136
        .size:           12
        .value_kind:     by_value
      - .offset:         148
        .size:           12
        .value_kind:     by_value
      - .offset:         160
        .size:           12
        .value_kind:     by_value
      - .offset:         172
        .size:           12
        .value_kind:     by_value
      - .offset:         184
        .size:           12
        .value_kind:     by_value
      - .offset:         200
        .size:           4
        .value_kind:     hidden_block_count_x
      - .offset:         204
        .size:           4
        .value_kind:     hidden_block_count_y
      - .offset:         208
        .size:           4
        .value_kind:     hidden_block_count_z
      - .offset:         212
        .size:           2
        .value_kind:     hidden_group_size_x
      - .offset:         214
        .size:           2
        .value_kind:     hidden_group_size_y
      - .offset:         216
        .size:           2
        .value_kind:     hidden_group_size_z
      - .offset:         218
        .size:           2
        .value_kind:     hidden_remainder_x
      - .offset:         220
        .size:           2
        .value_kind:     hidden_remainder_y
      - .offset:         222
        .size:           2
        .value_kind:     hidden_remainder_z
      - .offset:         240
        .size:           8
        .value_kind:     hidden_global_offset_x
      - .offset:         248
        .size:           8
        .value_kind:     hidden_global_offset_y
      - .offset:         256
        .size:           8
        .value_kind:     hidden_global_offset_z
      - .offset:         264
        .size:           2
        .value_kind:     hidden_grid_dims
    .group_segment_fixed_size: 0
    .kernarg_segment_align: 8
    .kernarg_segment_size: 456
    .language:       OpenCL C
    .language_version:
      - 2
      - 0
    .max_flat_workgroup_size: 1024
    .name:           _ZL16k_set_rows_quantIl12block_iq4_nlLi32ETnPFvPKfPT0_EXadL_ZL25quantize_f32_iq4_nl_blockS2_PS0_EEEvS2_PKT_S4_llllllllllllll15HIP_vector_typeIjLj3EESC_SC_SC_SC_
    .private_segment_fixed_size: 0
    .sgpr_count:     34
    .sgpr_spill_count: 0
    .symbol:         _ZL16k_set_rows_quantIl12block_iq4_nlLi32ETnPFvPKfPT0_EXadL_ZL25quantize_f32_iq4_nl_blockS2_PS0_EEEvS2_PKT_S4_llllllllllllll15HIP_vector_typeIjLj3EESC_SC_SC_SC_.kd
    .uniform_work_group_size: 1
    .uses_dynamic_stack: false
    .vgpr_count:     46
    .vgpr_spill_count: 0
    .wavefront_size: 32
  - .args:
      - .address_space:  global
        .offset:         0
        .size:           8
        .value_kind:     global_buffer
      - .address_space:  global
        .offset:         8
        .size:           8
        .value_kind:     global_buffer
      - .address_space:  global
        .offset:         16
        .size:           8
        .value_kind:     global_buffer
      - .offset:         24
        .size:           8
        .value_kind:     by_value
      - .offset:         32
        .size:           8
        .value_kind:     by_value
      - .offset:         40
        .size:           8
        .value_kind:     by_value
      - .offset:         48
        .size:           8
        .value_kind:     by_value
      - .offset:         56
        .size:           8
        .value_kind:     by_value
      - .offset:         64
        .size:           8
        .value_kind:     by_value
      - .offset:         72
        .size:           8
        .value_kind:     by_value
      - .offset:         80
        .size:           8
        .value_kind:     by_value
      - .offset:         88
        .size:           8
        .value_kind:     by_value
      - .offset:         96
        .size:           8
        .value_kind:     by_value
      - .offset:         104
        .size:           8
        .value_kind:     by_value
      - .offset:         112
        .size:           8
        .value_kind:     by_value
      - .offset:         120
        .size:           8
        .value_kind:     by_value
      - .offset:         128
        .size:           8
        .value_kind:     by_value
      - .offset:         136
        .size:           12
        .value_kind:     by_value
      - .offset:         148
        .size:           12
        .value_kind:     by_value
      - .offset:         160
        .size:           12
        .value_kind:     by_value
      - .offset:         172
        .size:           12
        .value_kind:     by_value
      - .offset:         184
        .size:           12
        .value_kind:     by_value
      - .offset:         200
        .size:           4
        .value_kind:     hidden_block_count_x
      - .offset:         204
        .size:           4
        .value_kind:     hidden_block_count_y
      - .offset:         208
        .size:           4
        .value_kind:     hidden_block_count_z
      - .offset:         212
        .size:           2
        .value_kind:     hidden_group_size_x
      - .offset:         214
        .size:           2
        .value_kind:     hidden_group_size_y
      - .offset:         216
        .size:           2
        .value_kind:     hidden_group_size_z
      - .offset:         218
        .size:           2
        .value_kind:     hidden_remainder_x
      - .offset:         220
        .size:           2
        .value_kind:     hidden_remainder_y
      - .offset:         222
        .size:           2
        .value_kind:     hidden_remainder_z
      - .offset:         240
        .size:           8
        .value_kind:     hidden_global_offset_x
      - .offset:         248
        .size:           8
        .value_kind:     hidden_global_offset_y
      - .offset:         256
        .size:           8
        .value_kind:     hidden_global_offset_z
      - .offset:         264
        .size:           2
        .value_kind:     hidden_grid_dims
    .group_segment_fixed_size: 0
    .kernarg_segment_align: 8
    .kernarg_segment_size: 456
    .language:       OpenCL C
    .language_version:
      - 2
      - 0
    .max_flat_workgroup_size: 1024
    .name:           _ZL10k_set_rowsIfifEvPKT_PKT0_PT1_llllllllllllll15HIP_vector_typeIjLj3EES9_S9_S9_S9_
    .private_segment_fixed_size: 0
    .sgpr_count:     47
    .sgpr_spill_count: 0
    .symbol:         _ZL10k_set_rowsIfifEvPKT_PKT0_PT1_llllllllllllll15HIP_vector_typeIjLj3EES9_S9_S9_S9_.kd
    .uniform_work_group_size: 1
    .uses_dynamic_stack: false
    .vgpr_count:     16
    .vgpr_spill_count: 0
    .wavefront_size: 32
  - .args:
      - .address_space:  global
        .offset:         0
        .size:           8
        .value_kind:     global_buffer
      - .address_space:  global
        .offset:         8
        .size:           8
        .value_kind:     global_buffer
      - .address_space:  global
        .offset:         16
        .size:           8
        .value_kind:     global_buffer
      - .offset:         24
        .size:           8
        .value_kind:     by_value
      - .offset:         32
        .size:           8
        .value_kind:     by_value
      - .offset:         40
        .size:           8
        .value_kind:     by_value
      - .offset:         48
        .size:           8
        .value_kind:     by_value
      - .offset:         56
        .size:           8
        .value_kind:     by_value
      - .offset:         64
        .size:           8
        .value_kind:     by_value
      - .offset:         72
        .size:           8
        .value_kind:     by_value
      - .offset:         80
        .size:           8
        .value_kind:     by_value
      - .offset:         88
        .size:           8
        .value_kind:     by_value
      - .offset:         96
        .size:           8
        .value_kind:     by_value
      - .offset:         104
        .size:           8
        .value_kind:     by_value
      - .offset:         112
        .size:           8
        .value_kind:     by_value
      - .offset:         120
        .size:           8
        .value_kind:     by_value
      - .offset:         128
        .size:           8
        .value_kind:     by_value
      - .offset:         136
        .size:           12
        .value_kind:     by_value
      - .offset:         148
        .size:           12
        .value_kind:     by_value
      - .offset:         160
        .size:           12
        .value_kind:     by_value
      - .offset:         172
        .size:           12
        .value_kind:     by_value
      - .offset:         184
        .size:           12
        .value_kind:     by_value
      - .offset:         200
        .size:           4
        .value_kind:     hidden_block_count_x
      - .offset:         204
        .size:           4
        .value_kind:     hidden_block_count_y
      - .offset:         208
        .size:           4
        .value_kind:     hidden_block_count_z
      - .offset:         212
        .size:           2
        .value_kind:     hidden_group_size_x
      - .offset:         214
        .size:           2
        .value_kind:     hidden_group_size_y
      - .offset:         216
        .size:           2
        .value_kind:     hidden_group_size_z
      - .offset:         218
        .size:           2
        .value_kind:     hidden_remainder_x
      - .offset:         220
        .size:           2
        .value_kind:     hidden_remainder_y
      - .offset:         222
        .size:           2
        .value_kind:     hidden_remainder_z
      - .offset:         240
        .size:           8
        .value_kind:     hidden_global_offset_x
      - .offset:         248
        .size:           8
        .value_kind:     hidden_global_offset_y
      - .offset:         256
        .size:           8
        .value_kind:     hidden_global_offset_z
      - .offset:         264
        .size:           2
        .value_kind:     hidden_grid_dims
    .group_segment_fixed_size: 0
    .kernarg_segment_align: 8
    .kernarg_segment_size: 456
    .language:       OpenCL C
    .language_version:
      - 2
      - 0
    .max_flat_workgroup_size: 1024
    .name:           _ZL10k_set_rowsIfi6__halfEvPKT_PKT0_PT1_llllllllllllll15HIP_vector_typeIjLj3EESA_SA_SA_SA_
    .private_segment_fixed_size: 0
    .sgpr_count:     47
    .sgpr_spill_count: 0
    .symbol:         _ZL10k_set_rowsIfi6__halfEvPKT_PKT0_PT1_llllllllllllll15HIP_vector_typeIjLj3EESA_SA_SA_SA_.kd
    .uniform_work_group_size: 1
    .uses_dynamic_stack: false
    .vgpr_count:     16
    .vgpr_spill_count: 0
    .wavefront_size: 32
  - .args:
      - .address_space:  global
        .offset:         0
        .size:           8
        .value_kind:     global_buffer
      - .address_space:  global
        .offset:         8
        .size:           8
        .value_kind:     global_buffer
      - .address_space:  global
        .offset:         16
        .size:           8
        .value_kind:     global_buffer
      - .offset:         24
        .size:           8
        .value_kind:     by_value
      - .offset:         32
        .size:           8
        .value_kind:     by_value
      - .offset:         40
        .size:           8
        .value_kind:     by_value
      - .offset:         48
        .size:           8
        .value_kind:     by_value
      - .offset:         56
        .size:           8
        .value_kind:     by_value
      - .offset:         64
        .size:           8
        .value_kind:     by_value
      - .offset:         72
        .size:           8
        .value_kind:     by_value
      - .offset:         80
        .size:           8
        .value_kind:     by_value
      - .offset:         88
        .size:           8
        .value_kind:     by_value
      - .offset:         96
        .size:           8
        .value_kind:     by_value
      - .offset:         104
        .size:           8
        .value_kind:     by_value
      - .offset:         112
        .size:           8
        .value_kind:     by_value
      - .offset:         120
        .size:           8
        .value_kind:     by_value
      - .offset:         128
        .size:           8
        .value_kind:     by_value
      - .offset:         136
        .size:           12
        .value_kind:     by_value
      - .offset:         148
        .size:           12
        .value_kind:     by_value
      - .offset:         160
        .size:           12
        .value_kind:     by_value
      - .offset:         172
        .size:           12
        .value_kind:     by_value
      - .offset:         184
        .size:           12
        .value_kind:     by_value
      - .offset:         200
        .size:           4
        .value_kind:     hidden_block_count_x
      - .offset:         204
        .size:           4
        .value_kind:     hidden_block_count_y
      - .offset:         208
        .size:           4
        .value_kind:     hidden_block_count_z
      - .offset:         212
        .size:           2
        .value_kind:     hidden_group_size_x
      - .offset:         214
        .size:           2
        .value_kind:     hidden_group_size_y
      - .offset:         216
        .size:           2
        .value_kind:     hidden_group_size_z
      - .offset:         218
        .size:           2
        .value_kind:     hidden_remainder_x
      - .offset:         220
        .size:           2
        .value_kind:     hidden_remainder_y
      - .offset:         222
        .size:           2
        .value_kind:     hidden_remainder_z
      - .offset:         240
        .size:           8
        .value_kind:     hidden_global_offset_x
      - .offset:         248
        .size:           8
        .value_kind:     hidden_global_offset_y
      - .offset:         256
        .size:           8
        .value_kind:     hidden_global_offset_z
      - .offset:         264
        .size:           2
        .value_kind:     hidden_grid_dims
    .group_segment_fixed_size: 0
    .kernarg_segment_align: 8
    .kernarg_segment_size: 456
    .language:       OpenCL C
    .language_version:
      - 2
      - 0
    .max_flat_workgroup_size: 1024
    .name:           _ZL10k_set_rowsIfi14__hip_bfloat16EvPKT_PKT0_PT1_llllllllllllll15HIP_vector_typeIjLj3EESA_SA_SA_SA_
    .private_segment_fixed_size: 0
    .sgpr_count:     47
    .sgpr_spill_count: 0
    .symbol:         _ZL10k_set_rowsIfi14__hip_bfloat16EvPKT_PKT0_PT1_llllllllllllll15HIP_vector_typeIjLj3EESA_SA_SA_SA_.kd
    .uniform_work_group_size: 1
    .uses_dynamic_stack: false
    .vgpr_count:     16
    .vgpr_spill_count: 0
    .wavefront_size: 32
  - .args:
      - .actual_access:  read_only
        .address_space:  global
        .offset:         0
        .size:           8
        .value_kind:     global_buffer
      - .actual_access:  read_only
        .address_space:  global
        .offset:         8
        .size:           8
        .value_kind:     global_buffer
      - .actual_access:  write_only
        .address_space:  global
        .offset:         16
        .size:           8
        .value_kind:     global_buffer
      - .offset:         24
        .size:           8
        .value_kind:     by_value
      - .offset:         32
        .size:           8
        .value_kind:     by_value
      - .offset:         40
        .size:           8
        .value_kind:     by_value
      - .offset:         48
        .size:           8
        .value_kind:     by_value
      - .offset:         56
        .size:           8
        .value_kind:     by_value
      - .offset:         64
        .size:           8
        .value_kind:     by_value
      - .offset:         72
        .size:           8
        .value_kind:     by_value
      - .offset:         80
        .size:           8
        .value_kind:     by_value
      - .offset:         88
        .size:           8
        .value_kind:     by_value
      - .offset:         96
        .size:           8
        .value_kind:     by_value
      - .offset:         104
        .size:           8
        .value_kind:     by_value
      - .offset:         112
        .size:           8
        .value_kind:     by_value
      - .offset:         120
        .size:           8
        .value_kind:     by_value
      - .offset:         128
        .size:           8
        .value_kind:     by_value
      - .offset:         136
        .size:           12
        .value_kind:     by_value
      - .offset:         148
        .size:           12
        .value_kind:     by_value
      - .offset:         160
        .size:           12
        .value_kind:     by_value
      - .offset:         172
        .size:           12
        .value_kind:     by_value
      - .offset:         184
        .size:           12
        .value_kind:     by_value
      - .offset:         200
        .size:           4
        .value_kind:     hidden_block_count_x
      - .offset:         204
        .size:           4
        .value_kind:     hidden_block_count_y
      - .offset:         208
        .size:           4
        .value_kind:     hidden_block_count_z
      - .offset:         212
        .size:           2
        .value_kind:     hidden_group_size_x
      - .offset:         214
        .size:           2
        .value_kind:     hidden_group_size_y
      - .offset:         216
        .size:           2
        .value_kind:     hidden_group_size_z
      - .offset:         218
        .size:           2
        .value_kind:     hidden_remainder_x
      - .offset:         220
        .size:           2
        .value_kind:     hidden_remainder_y
      - .offset:         222
        .size:           2
        .value_kind:     hidden_remainder_z
      - .offset:         240
        .size:           8
        .value_kind:     hidden_global_offset_x
      - .offset:         248
        .size:           8
        .value_kind:     hidden_global_offset_y
      - .offset:         256
        .size:           8
        .value_kind:     hidden_global_offset_z
      - .offset:         264
        .size:           2
        .value_kind:     hidden_grid_dims
    .group_segment_fixed_size: 0
    .kernarg_segment_align: 8
    .kernarg_segment_size: 456
    .language:       OpenCL C
    .language_version:
      - 2
      - 0
    .max_flat_workgroup_size: 1024
    .name:           _ZL16k_set_rows_quantIi10block_q4_0Li32ETnPFvPKfPT0_EXadL_ZL23quantize_f32_q4_0_blockS2_PS0_EEEvS2_PKT_S4_llllllllllllll15HIP_vector_typeIjLj3EESC_SC_SC_SC_
    .private_segment_fixed_size: 0
    .sgpr_count:     34
    .sgpr_spill_count: 0
    .symbol:         _ZL16k_set_rows_quantIi10block_q4_0Li32ETnPFvPKfPT0_EXadL_ZL23quantize_f32_q4_0_blockS2_PS0_EEEvS2_PKT_S4_llllllllllllll15HIP_vector_typeIjLj3EESC_SC_SC_SC_.kd
    .uniform_work_group_size: 1
    .uses_dynamic_stack: false
    .vgpr_count:     61
    .vgpr_spill_count: 0
    .wavefront_size: 32
  - .args:
      - .actual_access:  read_only
        .address_space:  global
        .offset:         0
        .size:           8
        .value_kind:     global_buffer
      - .actual_access:  read_only
        .address_space:  global
        .offset:         8
        .size:           8
        .value_kind:     global_buffer
      - .actual_access:  write_only
        .address_space:  global
        .offset:         16
        .size:           8
        .value_kind:     global_buffer
      - .offset:         24
        .size:           8
        .value_kind:     by_value
      - .offset:         32
        .size:           8
        .value_kind:     by_value
      - .offset:         40
        .size:           8
        .value_kind:     by_value
      - .offset:         48
        .size:           8
        .value_kind:     by_value
      - .offset:         56
        .size:           8
        .value_kind:     by_value
      - .offset:         64
        .size:           8
        .value_kind:     by_value
      - .offset:         72
        .size:           8
        .value_kind:     by_value
      - .offset:         80
        .size:           8
        .value_kind:     by_value
      - .offset:         88
        .size:           8
        .value_kind:     by_value
      - .offset:         96
        .size:           8
        .value_kind:     by_value
      - .offset:         104
        .size:           8
        .value_kind:     by_value
      - .offset:         112
        .size:           8
        .value_kind:     by_value
      - .offset:         120
        .size:           8
        .value_kind:     by_value
      - .offset:         128
        .size:           8
        .value_kind:     by_value
      - .offset:         136
        .size:           12
        .value_kind:     by_value
      - .offset:         148
        .size:           12
        .value_kind:     by_value
      - .offset:         160
        .size:           12
        .value_kind:     by_value
      - .offset:         172
        .size:           12
        .value_kind:     by_value
      - .offset:         184
        .size:           12
        .value_kind:     by_value
      - .offset:         200
        .size:           4
        .value_kind:     hidden_block_count_x
      - .offset:         204
        .size:           4
        .value_kind:     hidden_block_count_y
      - .offset:         208
        .size:           4
        .value_kind:     hidden_block_count_z
      - .offset:         212
        .size:           2
        .value_kind:     hidden_group_size_x
      - .offset:         214
        .size:           2
        .value_kind:     hidden_group_size_y
      - .offset:         216
        .size:           2
        .value_kind:     hidden_group_size_z
      - .offset:         218
        .size:           2
        .value_kind:     hidden_remainder_x
      - .offset:         220
        .size:           2
        .value_kind:     hidden_remainder_y
      - .offset:         222
        .size:           2
        .value_kind:     hidden_remainder_z
      - .offset:         240
        .size:           8
        .value_kind:     hidden_global_offset_x
      - .offset:         248
        .size:           8
        .value_kind:     hidden_global_offset_y
      - .offset:         256
        .size:           8
        .value_kind:     hidden_global_offset_z
      - .offset:         264
        .size:           2
        .value_kind:     hidden_grid_dims
    .group_segment_fixed_size: 0
    .kernarg_segment_align: 8
    .kernarg_segment_size: 456
    .language:       OpenCL C
    .language_version:
      - 2
      - 0
    .max_flat_workgroup_size: 1024
    .name:           _ZL16k_set_rows_quantIi10block_q4_1Li32ETnPFvPKfPT0_EXadL_ZL23quantize_f32_q4_1_blockS2_PS0_EEEvS2_PKT_S4_llllllllllllll15HIP_vector_typeIjLj3EESC_SC_SC_SC_
    .private_segment_fixed_size: 0
    .sgpr_count:     34
    .sgpr_spill_count: 0
    .symbol:         _ZL16k_set_rows_quantIi10block_q4_1Li32ETnPFvPKfPT0_EXadL_ZL23quantize_f32_q4_1_blockS2_PS0_EEEvS2_PKT_S4_llllllllllllll15HIP_vector_typeIjLj3EESC_SC_SC_SC_.kd
    .uniform_work_group_size: 1
    .uses_dynamic_stack: false
    .vgpr_count:     61
    .vgpr_spill_count: 0
    .wavefront_size: 32
  - .args:
      - .actual_access:  read_only
        .address_space:  global
        .offset:         0
        .size:           8
        .value_kind:     global_buffer
      - .actual_access:  read_only
        .address_space:  global
        .offset:         8
        .size:           8
        .value_kind:     global_buffer
      - .actual_access:  write_only
        .address_space:  global
        .offset:         16
        .size:           8
        .value_kind:     global_buffer
      - .offset:         24
        .size:           8
        .value_kind:     by_value
      - .offset:         32
        .size:           8
        .value_kind:     by_value
      - .offset:         40
        .size:           8
        .value_kind:     by_value
      - .offset:         48
        .size:           8
        .value_kind:     by_value
      - .offset:         56
        .size:           8
        .value_kind:     by_value
      - .offset:         64
        .size:           8
        .value_kind:     by_value
      - .offset:         72
        .size:           8
        .value_kind:     by_value
      - .offset:         80
        .size:           8
        .value_kind:     by_value
      - .offset:         88
        .size:           8
        .value_kind:     by_value
      - .offset:         96
        .size:           8
        .value_kind:     by_value
      - .offset:         104
        .size:           8
        .value_kind:     by_value
      - .offset:         112
        .size:           8
        .value_kind:     by_value
      - .offset:         120
        .size:           8
        .value_kind:     by_value
      - .offset:         128
        .size:           8
        .value_kind:     by_value
      - .offset:         136
        .size:           12
        .value_kind:     by_value
      - .offset:         148
        .size:           12
        .value_kind:     by_value
      - .offset:         160
        .size:           12
        .value_kind:     by_value
      - .offset:         172
        .size:           12
        .value_kind:     by_value
      - .offset:         184
        .size:           12
        .value_kind:     by_value
      - .offset:         200
        .size:           4
        .value_kind:     hidden_block_count_x
      - .offset:         204
        .size:           4
        .value_kind:     hidden_block_count_y
      - .offset:         208
        .size:           4
        .value_kind:     hidden_block_count_z
      - .offset:         212
        .size:           2
        .value_kind:     hidden_group_size_x
      - .offset:         214
        .size:           2
        .value_kind:     hidden_group_size_y
      - .offset:         216
        .size:           2
        .value_kind:     hidden_group_size_z
      - .offset:         218
        .size:           2
        .value_kind:     hidden_remainder_x
      - .offset:         220
        .size:           2
        .value_kind:     hidden_remainder_y
      - .offset:         222
        .size:           2
        .value_kind:     hidden_remainder_z
      - .offset:         240
        .size:           8
        .value_kind:     hidden_global_offset_x
      - .offset:         248
        .size:           8
        .value_kind:     hidden_global_offset_y
      - .offset:         256
        .size:           8
        .value_kind:     hidden_global_offset_z
      - .offset:         264
        .size:           2
        .value_kind:     hidden_grid_dims
    .group_segment_fixed_size: 0
    .kernarg_segment_align: 8
    .kernarg_segment_size: 456
    .language:       OpenCL C
    .language_version:
      - 2
      - 0
    .max_flat_workgroup_size: 1024
    .name:           _ZL16k_set_rows_quantIi10block_q5_0Li32ETnPFvPKfPT0_EXadL_ZL23quantize_f32_q5_0_blockS2_PS0_EEEvS2_PKT_S4_llllllllllllll15HIP_vector_typeIjLj3EESC_SC_SC_SC_
    .private_segment_fixed_size: 0
    .sgpr_count:     34
    .sgpr_spill_count: 0
    .symbol:         _ZL16k_set_rows_quantIi10block_q5_0Li32ETnPFvPKfPT0_EXadL_ZL23quantize_f32_q5_0_blockS2_PS0_EEEvS2_PKT_S4_llllllllllllll15HIP_vector_typeIjLj3EESC_SC_SC_SC_.kd
    .uniform_work_group_size: 1
    .uses_dynamic_stack: false
    .vgpr_count:     52
    .vgpr_spill_count: 0
    .wavefront_size: 32
  - .args:
      - .actual_access:  read_only
        .address_space:  global
        .offset:         0
        .size:           8
        .value_kind:     global_buffer
      - .actual_access:  read_only
        .address_space:  global
        .offset:         8
        .size:           8
        .value_kind:     global_buffer
      - .actual_access:  write_only
        .address_space:  global
        .offset:         16
        .size:           8
        .value_kind:     global_buffer
      - .offset:         24
        .size:           8
        .value_kind:     by_value
      - .offset:         32
        .size:           8
        .value_kind:     by_value
      - .offset:         40
        .size:           8
        .value_kind:     by_value
      - .offset:         48
        .size:           8
        .value_kind:     by_value
      - .offset:         56
        .size:           8
        .value_kind:     by_value
      - .offset:         64
        .size:           8
        .value_kind:     by_value
      - .offset:         72
        .size:           8
        .value_kind:     by_value
      - .offset:         80
        .size:           8
        .value_kind:     by_value
      - .offset:         88
        .size:           8
        .value_kind:     by_value
      - .offset:         96
        .size:           8
        .value_kind:     by_value
      - .offset:         104
        .size:           8
        .value_kind:     by_value
      - .offset:         112
        .size:           8
        .value_kind:     by_value
      - .offset:         120
        .size:           8
        .value_kind:     by_value
      - .offset:         128
        .size:           8
        .value_kind:     by_value
      - .offset:         136
        .size:           12
        .value_kind:     by_value
      - .offset:         148
        .size:           12
        .value_kind:     by_value
      - .offset:         160
        .size:           12
        .value_kind:     by_value
      - .offset:         172
        .size:           12
        .value_kind:     by_value
      - .offset:         184
        .size:           12
        .value_kind:     by_value
      - .offset:         200
        .size:           4
        .value_kind:     hidden_block_count_x
      - .offset:         204
        .size:           4
        .value_kind:     hidden_block_count_y
      - .offset:         208
        .size:           4
        .value_kind:     hidden_block_count_z
      - .offset:         212
        .size:           2
        .value_kind:     hidden_group_size_x
      - .offset:         214
        .size:           2
        .value_kind:     hidden_group_size_y
      - .offset:         216
        .size:           2
        .value_kind:     hidden_group_size_z
      - .offset:         218
        .size:           2
        .value_kind:     hidden_remainder_x
      - .offset:         220
        .size:           2
        .value_kind:     hidden_remainder_y
      - .offset:         222
        .size:           2
        .value_kind:     hidden_remainder_z
      - .offset:         240
        .size:           8
        .value_kind:     hidden_global_offset_x
      - .offset:         248
        .size:           8
        .value_kind:     hidden_global_offset_y
      - .offset:         256
        .size:           8
        .value_kind:     hidden_global_offset_z
      - .offset:         264
        .size:           2
        .value_kind:     hidden_grid_dims
    .group_segment_fixed_size: 0
    .kernarg_segment_align: 8
    .kernarg_segment_size: 456
    .language:       OpenCL C
    .language_version:
      - 2
      - 0
    .max_flat_workgroup_size: 1024
    .name:           _ZL16k_set_rows_quantIi10block_q5_1Li32ETnPFvPKfPT0_EXadL_ZL23quantize_f32_q5_1_blockS2_PS0_EEEvS2_PKT_S4_llllllllllllll15HIP_vector_typeIjLj3EESC_SC_SC_SC_
    .private_segment_fixed_size: 0
    .sgpr_count:     34
    .sgpr_spill_count: 0
    .symbol:         _ZL16k_set_rows_quantIi10block_q5_1Li32ETnPFvPKfPT0_EXadL_ZL23quantize_f32_q5_1_blockS2_PS0_EEEvS2_PKT_S4_llllllllllllll15HIP_vector_typeIjLj3EESC_SC_SC_SC_.kd
    .uniform_work_group_size: 1
    .uses_dynamic_stack: false
    .vgpr_count:     52
    .vgpr_spill_count: 0
    .wavefront_size: 32
  - .args:
      - .actual_access:  read_only
        .address_space:  global
        .offset:         0
        .size:           8
        .value_kind:     global_buffer
      - .actual_access:  read_only
        .address_space:  global
        .offset:         8
        .size:           8
        .value_kind:     global_buffer
      - .actual_access:  write_only
        .address_space:  global
        .offset:         16
        .size:           8
        .value_kind:     global_buffer
      - .offset:         24
        .size:           8
        .value_kind:     by_value
      - .offset:         32
        .size:           8
        .value_kind:     by_value
      - .offset:         40
        .size:           8
        .value_kind:     by_value
      - .offset:         48
        .size:           8
        .value_kind:     by_value
      - .offset:         56
        .size:           8
        .value_kind:     by_value
      - .offset:         64
        .size:           8
        .value_kind:     by_value
      - .offset:         72
        .size:           8
        .value_kind:     by_value
      - .offset:         80
        .size:           8
        .value_kind:     by_value
      - .offset:         88
        .size:           8
        .value_kind:     by_value
      - .offset:         96
        .size:           8
        .value_kind:     by_value
      - .offset:         104
        .size:           8
        .value_kind:     by_value
      - .offset:         112
        .size:           8
        .value_kind:     by_value
      - .offset:         120
        .size:           8
        .value_kind:     by_value
      - .offset:         128
        .size:           8
        .value_kind:     by_value
      - .offset:         136
        .size:           12
        .value_kind:     by_value
      - .offset:         148
        .size:           12
        .value_kind:     by_value
      - .offset:         160
        .size:           12
        .value_kind:     by_value
      - .offset:         172
        .size:           12
        .value_kind:     by_value
      - .offset:         184
        .size:           12
        .value_kind:     by_value
      - .offset:         200
        .size:           4
        .value_kind:     hidden_block_count_x
      - .offset:         204
        .size:           4
        .value_kind:     hidden_block_count_y
      - .offset:         208
        .size:           4
        .value_kind:     hidden_block_count_z
      - .offset:         212
        .size:           2
        .value_kind:     hidden_group_size_x
      - .offset:         214
        .size:           2
        .value_kind:     hidden_group_size_y
      - .offset:         216
        .size:           2
        .value_kind:     hidden_group_size_z
      - .offset:         218
        .size:           2
        .value_kind:     hidden_remainder_x
      - .offset:         220
        .size:           2
        .value_kind:     hidden_remainder_y
      - .offset:         222
        .size:           2
        .value_kind:     hidden_remainder_z
      - .offset:         240
        .size:           8
        .value_kind:     hidden_global_offset_x
      - .offset:         248
        .size:           8
        .value_kind:     hidden_global_offset_y
      - .offset:         256
        .size:           8
        .value_kind:     hidden_global_offset_z
      - .offset:         264
        .size:           2
        .value_kind:     hidden_grid_dims
    .group_segment_fixed_size: 0
    .kernarg_segment_align: 8
    .kernarg_segment_size: 456
    .language:       OpenCL C
    .language_version:
      - 2
      - 0
    .max_flat_workgroup_size: 1024
    .name:           _ZL16k_set_rows_quantIi10block_q8_0Li32ETnPFvPKfPT0_EXadL_ZL23quantize_f32_q8_0_blockS2_PS0_EEEvS2_PKT_S4_llllllllllllll15HIP_vector_typeIjLj3EESC_SC_SC_SC_
    .private_segment_fixed_size: 0
    .sgpr_count:     34
    .sgpr_spill_count: 0
    .symbol:         _ZL16k_set_rows_quantIi10block_q8_0Li32ETnPFvPKfPT0_EXadL_ZL23quantize_f32_q8_0_blockS2_PS0_EEEvS2_PKT_S4_llllllllllllll15HIP_vector_typeIjLj3EESC_SC_SC_SC_.kd
    .uniform_work_group_size: 1
    .uses_dynamic_stack: false
    .vgpr_count:     78
    .vgpr_spill_count: 0
    .wavefront_size: 32
  - .args:
      - .actual_access:  read_only
        .address_space:  global
        .offset:         0
        .size:           8
        .value_kind:     global_buffer
      - .actual_access:  read_only
        .address_space:  global
        .offset:         8
        .size:           8
        .value_kind:     global_buffer
      - .actual_access:  write_only
        .address_space:  global
        .offset:         16
        .size:           8
        .value_kind:     global_buffer
      - .offset:         24
        .size:           8
        .value_kind:     by_value
      - .offset:         32
        .size:           8
        .value_kind:     by_value
      - .offset:         40
        .size:           8
        .value_kind:     by_value
      - .offset:         48
        .size:           8
        .value_kind:     by_value
      - .offset:         56
        .size:           8
        .value_kind:     by_value
      - .offset:         64
        .size:           8
        .value_kind:     by_value
      - .offset:         72
        .size:           8
        .value_kind:     by_value
      - .offset:         80
        .size:           8
        .value_kind:     by_value
      - .offset:         88
        .size:           8
        .value_kind:     by_value
      - .offset:         96
        .size:           8
        .value_kind:     by_value
      - .offset:         104
        .size:           8
        .value_kind:     by_value
      - .offset:         112
        .size:           8
        .value_kind:     by_value
      - .offset:         120
        .size:           8
        .value_kind:     by_value
      - .offset:         128
        .size:           8
        .value_kind:     by_value
      - .offset:         136
        .size:           12
        .value_kind:     by_value
      - .offset:         148
        .size:           12
        .value_kind:     by_value
      - .offset:         160
        .size:           12
        .value_kind:     by_value
      - .offset:         172
        .size:           12
        .value_kind:     by_value
      - .offset:         184
        .size:           12
        .value_kind:     by_value
      - .offset:         200
        .size:           4
        .value_kind:     hidden_block_count_x
      - .offset:         204
        .size:           4
        .value_kind:     hidden_block_count_y
      - .offset:         208
        .size:           4
        .value_kind:     hidden_block_count_z
      - .offset:         212
        .size:           2
        .value_kind:     hidden_group_size_x
      - .offset:         214
        .size:           2
        .value_kind:     hidden_group_size_y
      - .offset:         216
        .size:           2
        .value_kind:     hidden_group_size_z
      - .offset:         218
        .size:           2
        .value_kind:     hidden_remainder_x
      - .offset:         220
        .size:           2
        .value_kind:     hidden_remainder_y
      - .offset:         222
        .size:           2
        .value_kind:     hidden_remainder_z
      - .offset:         240
        .size:           8
        .value_kind:     hidden_global_offset_x
      - .offset:         248
        .size:           8
        .value_kind:     hidden_global_offset_y
      - .offset:         256
        .size:           8
        .value_kind:     hidden_global_offset_z
      - .offset:         264
        .size:           2
        .value_kind:     hidden_grid_dims
    .group_segment_fixed_size: 0
    .kernarg_segment_align: 8
    .kernarg_segment_size: 456
    .language:       OpenCL C
    .language_version:
      - 2
      - 0
    .max_flat_workgroup_size: 1024
    .name:           _ZL16k_set_rows_quantIi12block_iq4_nlLi32ETnPFvPKfPT0_EXadL_ZL25quantize_f32_iq4_nl_blockS2_PS0_EEEvS2_PKT_S4_llllllllllllll15HIP_vector_typeIjLj3EESC_SC_SC_SC_
    .private_segment_fixed_size: 0
    .sgpr_count:     34
    .sgpr_spill_count: 0
    .symbol:         _ZL16k_set_rows_quantIi12block_iq4_nlLi32ETnPFvPKfPT0_EXadL_ZL25quantize_f32_iq4_nl_blockS2_PS0_EEEvS2_PKT_S4_llllllllllllll15HIP_vector_typeIjLj3EESC_SC_SC_SC_.kd
    .uniform_work_group_size: 1
    .uses_dynamic_stack: false
    .vgpr_count:     46
    .vgpr_spill_count: 0
    .wavefront_size: 32
amdhsa.target:   amdgcn-amd-amdhsa--gfx1250
amdhsa.version:
  - 1
  - 2
...

	.end_amdgpu_metadata
